;; amdgpu-corpus repo=ROCm/rocFFT kind=compiled arch=gfx1201 opt=O3
	.text
	.amdgcn_target "amdgcn-amd-amdhsa--gfx1201"
	.amdhsa_code_object_version 6
	.protected	bluestein_single_back_len864_dim1_sp_op_CI_CI ; -- Begin function bluestein_single_back_len864_dim1_sp_op_CI_CI
	.globl	bluestein_single_back_len864_dim1_sp_op_CI_CI
	.p2align	8
	.type	bluestein_single_back_len864_dim1_sp_op_CI_CI,@function
bluestein_single_back_len864_dim1_sp_op_CI_CI: ; @bluestein_single_back_len864_dim1_sp_op_CI_CI
; %bb.0:
	s_load_b128 s[8:11], s[0:1], 0x28
	v_mul_u32_u24_e32 v1, 0x4be, v0
	s_mov_b32 s2, exec_lo
	v_mov_b32_e32 v115, 0
	s_delay_alu instid0(VALU_DEP_2) | instskip(NEXT) | instid1(VALU_DEP_1)
	v_lshrrev_b32_e32 v1, 16, v1
	v_add_nc_u32_e32 v114, ttmp9, v1
	s_wait_kmcnt 0x0
	s_delay_alu instid0(VALU_DEP_1)
	v_cmpx_gt_u64_e64 s[8:9], v[114:115]
	s_cbranch_execz .LBB0_31
; %bb.1:
	s_clause 0x1
	s_load_b128 s[4:7], s[0:1], 0x18
	s_load_b64 s[16:17], s[0:1], 0x0
	v_mul_lo_u16 v1, v1, 54
	s_movk_i32 s2, 0xfdf6
	s_mov_b32 s3, -1
	s_delay_alu instid0(VALU_DEP_1) | instskip(NEXT) | instid1(VALU_DEP_1)
	v_sub_nc_u16 v40, v0, v1
	v_and_b32_e32 v154, 0xffff, v40
	s_wait_kmcnt 0x0
	s_load_b128 s[12:15], s[4:5], 0x0
	s_wait_kmcnt 0x0
	v_mad_co_u64_u32 v[0:1], null, s14, v114, 0
	v_mad_co_u64_u32 v[2:3], null, s12, v154, 0
	s_mul_u64 s[4:5], s[12:13], 0x120
	s_mul_u64 s[2:3], s[12:13], s[2:3]
	s_delay_alu instid0(SALU_CYCLE_1) | instskip(NEXT) | instid1(VALU_DEP_1)
	s_lshl_b64 s[2:3], s[2:3], 3
	v_mad_co_u64_u32 v[6:7], null, s15, v114, v[1:2]
	s_delay_alu instid0(VALU_DEP_1)
	v_mov_b32_e32 v1, v6
	v_or_b32_e32 v155, 0x240, v154
	v_lshlrev_b32_e32 v153, 3, v154
	s_clause 0x3
	global_load_b64 v[137:138], v153, s[16:17] offset:4608
	global_load_b64 v[123:124], v153, s[16:17] offset:5040
	;; [unrolled: 1-line block ×4, first 2 shown]
	v_mad_co_u64_u32 v[4:5], null, s12, v155, 0
	v_lshlrev_b64_e32 v[0:1], 3, v[0:1]
	s_clause 0x8
	global_load_b64 v[141:142], v153, s[16:17]
	global_load_b64 v[139:140], v153, s[16:17] offset:432
	global_load_b64 v[129:130], v153, s[16:17] offset:864
	;; [unrolled: 1-line block ×8, first 2 shown]
	v_mad_co_u64_u32 v[7:8], null, s13, v154, v[3:4]
	v_mad_co_u64_u32 v[5:6], null, s13, v155, v[5:6]
	v_add_co_u32 v8, vcc_lo, s10, v0
	v_add_co_ci_u32_e32 v9, vcc_lo, s11, v1, vcc_lo
	s_delay_alu instid0(VALU_DEP_4) | instskip(SKIP_1) | instid1(VALU_DEP_4)
	v_mov_b32_e32 v3, v7
	s_lshl_b64 s[10:11], s[4:5], 3
	v_lshlrev_b64_e32 v[4:5], 3, v[4:5]
	s_mul_i32 s4, s13, 0xfffff8b0
	s_delay_alu instid0(VALU_DEP_2) | instskip(SKIP_1) | instid1(VALU_DEP_1)
	v_lshlrev_b64_e32 v[2:3], 3, v[2:3]
	s_sub_co_i32 s4, s4, s12
	v_add_co_u32 v0, vcc_lo, v8, v2
	s_wait_alu 0xfffd
	s_delay_alu instid0(VALU_DEP_2) | instskip(SKIP_1) | instid1(VALU_DEP_2)
	v_add_co_ci_u32_e32 v1, vcc_lo, v9, v3, vcc_lo
	s_wait_alu 0xfffe
	v_add_co_u32 v2, vcc_lo, v0, s10
	s_wait_alu 0xfffd
	s_delay_alu instid0(VALU_DEP_2) | instskip(SKIP_3) | instid1(VALU_DEP_3)
	v_add_co_ci_u32_e32 v3, vcc_lo, s11, v1, vcc_lo
	v_add_co_u32 v4, vcc_lo, v8, v4
	s_wait_alu 0xfffd
	v_add_co_ci_u32_e32 v5, vcc_lo, v9, v5, vcc_lo
	v_mad_co_u64_u32 v[6:7], null, 0xfffff8b0, s12, v[2:3]
	s_clause 0x2
	global_load_b64 v[10:11], v[0:1], off
	global_load_b64 v[2:3], v[2:3], off
	;; [unrolled: 1-line block ×3, first 2 shown]
	v_add_nc_u32_e32 v7, s4, v7
	v_add_co_u32 v0, vcc_lo, v6, s10
	s_wait_loadcnt 0x2
	v_mul_f32_e32 v34, v11, v142
	s_wait_alu 0xfffd
	v_add_co_ci_u32_e32 v1, vcc_lo, s11, v7, vcc_lo
	v_add_co_u32 v8, vcc_lo, v0, s10
	global_load_b64 v[6:7], v[6:7], off
	s_wait_alu 0xfffd
	v_add_co_ci_u32_e32 v9, vcc_lo, s11, v1, vcc_lo
	s_wait_loadcnt 0x1
	v_dual_mul_f32 v36, v3, v144 :: v_dual_mul_f32 v39, v4, v138
	v_fmac_f32_e32 v34, v10, v141
	s_clause 0x1
	global_load_b64 v[14:15], v[8:9], off
	global_load_b64 v[12:13], v[0:1], off
	v_add_co_u32 v0, vcc_lo, v8, s2
	s_wait_alu 0xfffd
	v_add_co_ci_u32_e32 v1, vcc_lo, s3, v9, vcc_lo
	v_mul_f32_e32 v37, v2, v144
	s_delay_alu instid0(VALU_DEP_3) | instskip(SKIP_1) | instid1(VALU_DEP_3)
	v_add_co_u32 v8, vcc_lo, v0, s10
	s_wait_alu 0xfffd
	v_add_co_ci_u32_e32 v9, vcc_lo, s11, v1, vcc_lo
	global_load_b64 v[16:17], v[0:1], off
	v_add_co_u32 v0, vcc_lo, v8, s10
	s_wait_alu 0xfffd
	v_add_co_ci_u32_e32 v1, vcc_lo, s11, v9, vcc_lo
	global_load_b64 v[18:19], v[8:9], off
	;; [unrolled: 4-line block ×7, first 2 shown]
	v_add_co_u32 v0, vcc_lo, v8, s10
	s_wait_alu 0xfffd
	v_add_co_ci_u32_e32 v1, vcc_lo, s11, v9, vcc_lo
	global_load_b64 v[131:132], v153, s[16:17] offset:4032
	global_load_b64 v[30:31], v[8:9], off
	global_load_b64 v[133:134], v153, s[16:17] offset:6336
	global_load_b64 v[32:33], v[0:1], off
	v_dual_mul_f32 v38, v5, v138 :: v_dual_add_nc_u32 v9, 0x1000, v153
	v_mul_f32_e32 v35, v10, v142
	v_fmac_f32_e32 v36, v2, v143
	v_fma_f32 v39, v5, v137, -v39
	s_load_b64 s[8:9], s[0:1], 0x38
	s_load_b128 s[4:7], s[6:7], 0x0
	v_fmac_f32_e32 v38, v4, v137
	v_fma_f32 v35, v11, v141, -v35
	v_add_nc_u32_e32 v8, 0x800, v153
	v_add_co_u32 v112, s12, s16, v153
	s_wait_alu 0xf1ff
	v_add_co_ci_u32_e64 v113, null, s17, 0, s12
	v_cmp_gt_u16_e32 vcc_lo, 18, v40
	s_wait_loadcnt 0xd
	v_mul_f32_e32 v2, v7, v140
	s_delay_alu instid0(VALU_DEP_1)
	v_fmac_f32_e32 v2, v6, v139
	s_wait_loadcnt 0xb
	v_mul_f32_e32 v4, v13, v126
	v_fma_f32 v37, v3, v143, -v37
	v_mul_f32_e32 v3, v6, v140
	v_dual_mul_f32 v5, v12, v126 :: v_dual_mul_f32 v6, v15, v124
	s_delay_alu instid0(VALU_DEP_4)
	v_fmac_f32_e32 v4, v12, v125
	ds_store_b64 v153, v[36:37] offset:2304
	ds_store_b64 v153, v[38:39] offset:4608
	v_fma_f32 v3, v7, v139, -v3
	v_mul_f32_e32 v7, v14, v124
	v_fma_f32 v5, v13, v125, -v5
	s_wait_loadcnt 0x9
	v_mul_f32_e32 v10, v19, v122
	v_mul_f32_e32 v11, v18, v122
	v_fmac_f32_e32 v6, v14, v123
	s_wait_loadcnt 0x8
	v_mul_f32_e32 v12, v21, v136
	v_mul_f32_e32 v13, v20, v136
	ds_store_2addr_b64 v153, v[34:35], v[2:3] offset1:54
	v_mul_f32_e32 v2, v17, v130
	v_fma_f32 v7, v15, v123, -v7
	v_fma_f32 v11, v19, v121, -v11
	s_wait_loadcnt 0x7
	v_mul_f32_e32 v15, v22, v128
	v_fmac_f32_e32 v10, v18, v121
	v_fmac_f32_e32 v12, v20, v135
	v_fma_f32 v13, v21, v135, -v13
	v_dual_mul_f32 v3, v16, v130 :: v_dual_mul_f32 v14, v23, v128
	ds_store_2addr_b64 v8, v[4:5], v[10:11] offset0:86 offset1:140
	ds_store_2addr_b64 v9, v[6:7], v[12:13] offset0:118 offset1:172
	v_fmac_f32_e32 v2, v16, v129
	s_wait_loadcnt 0x6
	v_mul_f32_e32 v4, v25, v116
	v_mul_f32_e32 v5, v24, v116
	v_fma_f32 v3, v17, v129, -v3
	s_wait_loadcnt 0x5
	v_mul_f32_e32 v6, v27, v118
	s_wait_loadcnt 0x4
	v_dual_mul_f32 v7, v26, v118 :: v_dual_mul_f32 v10, v29, v120
	v_mul_f32_e32 v11, v28, v120
	v_fma_f32 v15, v23, v127, -v15
	s_wait_loadcnt 0x2
	v_mul_f32_e32 v13, v30, v132
	v_mul_f32_e32 v12, v31, v132
	s_wait_loadcnt 0x0
	v_mul_f32_e32 v16, v33, v134
	v_dual_mul_f32 v17, v32, v134 :: v_dual_fmac_f32 v14, v22, v127
	v_fmac_f32_e32 v10, v28, v119
	v_fma_f32 v11, v29, v119, -v11
	v_fmac_f32_e32 v4, v24, v115
	v_fma_f32 v5, v25, v115, -v5
	;; [unrolled: 2-line block ×5, first 2 shown]
	v_add_nc_u32_e32 v18, 0x1400, v153
	ds_store_2addr_b64 v153, v[2:3], v[14:15] offset0:108 offset1:162
	ds_store_b64 v153, v[10:11] offset:1728
	ds_store_2addr_b64 v8, v[4:5], v[12:13] offset0:194 offset1:248
	ds_store_2addr_b64 v18, v[6:7], v[16:17] offset0:98 offset1:152
	s_and_saveexec_b32 s12, vcc_lo
	s_cbranch_execz .LBB0_3
; %bb.2:
	v_add_co_u32 v0, s2, v0, s2
	s_wait_alu 0xf1ff
	v_add_co_ci_u32_e64 v1, s2, s3, v1, s2
	global_load_b64 v[4:5], v[112:113], off offset:2160
	global_load_b64 v[2:3], v[0:1], off
	v_add_co_u32 v0, s2, v0, s10
	s_wait_alu 0xf1ff
	v_add_co_ci_u32_e64 v1, s2, s11, v1, s2
	s_delay_alu instid0(VALU_DEP_2) | instskip(SKIP_1) | instid1(VALU_DEP_2)
	v_add_co_u32 v6, s2, v0, s10
	s_wait_alu 0xf1ff
	v_add_co_ci_u32_e64 v7, s2, s11, v1, s2
	global_load_b64 v[0:1], v[0:1], off
	s_clause 0x1
	global_load_b64 v[10:11], v[112:113], off offset:4464
	global_load_b64 v[12:13], v[112:113], off offset:6768
	global_load_b64 v[6:7], v[6:7], off
	s_wait_loadcnt 0x4
	v_mul_f32_e32 v14, v3, v5
	v_mul_f32_e32 v15, v2, v5
	s_delay_alu instid0(VALU_DEP_2)
	v_fmac_f32_e32 v14, v2, v4
	s_wait_loadcnt 0x2
	v_mul_f32_e32 v2, v1, v11
	v_mul_f32_e32 v11, v0, v11
	s_wait_loadcnt 0x0
	v_mul_f32_e32 v5, v7, v13
	v_mul_f32_e32 v13, v6, v13
	v_fma_f32 v15, v3, v4, -v15
	v_fmac_f32_e32 v2, v0, v10
	v_fma_f32 v3, v1, v10, -v11
	v_fmac_f32_e32 v5, v6, v12
	v_fma_f32 v6, v7, v12, -v13
	ds_store_b64 v153, v[14:15] offset:2160
	ds_store_b64 v153, v[2:3] offset:4464
	;; [unrolled: 1-line block ×3, first 2 shown]
.LBB0_3:
	s_wait_alu 0xfffe
	s_or_b32 exec_lo, exec_lo, s12
	v_add_nc_u32_e32 v0, 0x400, v153
	global_wb scope:SCOPE_SE
	s_wait_dscnt 0x0
	s_wait_kmcnt 0x0
	s_barrier_signal -1
	s_barrier_wait -1
	global_inv scope:SCOPE_SE
	ds_load_2addr_b64 v[4:7], v153 offset1:54
	ds_load_2addr_b64 v[24:27], v0 offset0:88 offset1:160
	ds_load_2addr_b64 v[20:23], v9 offset0:64 offset1:118
	;; [unrolled: 1-line block ×6, first 2 shown]
	ds_load_b64 v[38:39], v153 offset:6336
                                        ; implicit-def: $vgpr30
                                        ; implicit-def: $vgpr36
                                        ; implicit-def: $vgpr28
	s_and_saveexec_b32 s2, vcc_lo
	s_cbranch_execz .LBB0_5
; %bb.4:
	ds_load_b64 v[30:31], v153 offset:2160
	ds_load_b64 v[36:37], v153 offset:4464
	;; [unrolled: 1-line block ×3, first 2 shown]
.LBB0_5:
	s_wait_alu 0xfffe
	s_or_b32 exec_lo, exec_lo, s2
	v_add_co_u32 v63, s2, v154, 54
	s_wait_alu 0xf1ff
	v_add_co_ci_u32_e64 v32, null, 0, 0, s2
	s_wait_dscnt 0x5
	v_dual_add_f32 v32, v4, v26 :: v_dual_add_f32 v33, v26, v20
	v_add_f32_e32 v34, v27, v21
	v_add_co_u32 v62, null, 0x6c, v154
	s_delay_alu instid0(VALU_DEP_3) | instskip(NEXT) | instid1(VALU_DEP_4)
	v_add_f32_e32 v40, v32, v20
	v_fma_f32 v4, -0.5, v33, v4
	v_sub_f32_e32 v33, v27, v21
	v_add_f32_e32 v27, v5, v27
	v_fma_f32 v5, -0.5, v34, v5
	v_sub_f32_e32 v26, v26, v20
	v_add_co_u32 v61, null, 0xa2, v154
	s_delay_alu instid0(VALU_DEP_4)
	v_dual_add_f32 v41, v27, v21 :: v_dual_fmamk_f32 v20, v33, 0x3f5db3d7, v4
	s_wait_dscnt 0x4
	v_dual_add_f32 v27, v16, v22 :: v_dual_fmac_f32 v4, 0xbf5db3d7, v33
	v_fmamk_f32 v21, v26, 0xbf5db3d7, v5
	v_dual_add_f32 v32, v6, v16 :: v_dual_fmac_f32 v5, 0x3f5db3d7, v26
	v_add_f32_e32 v26, v17, v23
	s_delay_alu instid0(VALU_DEP_4) | instskip(NEXT) | instid1(VALU_DEP_3)
	v_fma_f32 v6, -0.5, v27, v6
	v_dual_sub_f32 v27, v17, v23 :: v_dual_add_f32 v42, v32, v22
	v_add_f32_e32 v17, v7, v17
	s_delay_alu instid0(VALU_DEP_4) | instskip(SKIP_1) | instid1(VALU_DEP_4)
	v_fmac_f32_e32 v7, -0.5, v26
	v_sub_f32_e32 v22, v16, v22
	v_fmamk_f32 v16, v27, 0x3f5db3d7, v6
	v_fmac_f32_e32 v6, 0xbf5db3d7, v27
	v_add_f32_e32 v43, v17, v23
	s_wait_dscnt 0x2
	v_add_f32_e32 v23, v18, v12
	v_dual_fmamk_f32 v17, v22, 0xbf5db3d7, v7 :: v_dual_add_f32 v26, v0, v18
	v_fmac_f32_e32 v7, 0x3f5db3d7, v22
	v_dual_add_f32 v27, v19, v13 :: v_dual_sub_f32 v18, v18, v12
	s_delay_alu instid0(VALU_DEP_4) | instskip(NEXT) | instid1(VALU_DEP_4)
	v_fma_f32 v0, -0.5, v23, v0
	v_dual_sub_f32 v23, v19, v13 :: v_dual_add_f32 v22, v26, v12
	s_wait_dscnt 0x1
	v_dual_add_f32 v26, v2, v8 :: v_dual_add_f32 v19, v1, v19
	v_fma_f32 v1, -0.5, v27, v1
	s_delay_alu instid0(VALU_DEP_3)
	v_fmamk_f32 v12, v23, 0x3f5db3d7, v0
	v_fmac_f32_e32 v0, 0xbf5db3d7, v23
	v_add_f32_e32 v27, v9, v15
	v_add_f32_e32 v23, v19, v13
	;; [unrolled: 1-line block ×3, first 2 shown]
	v_fmamk_f32 v13, v18, 0xbf5db3d7, v1
	v_add_co_u32 v60, null, 0xd8, v154
	v_add_co_u32 v167, s2, 0x10e, v154
	s_delay_alu instid0(VALU_DEP_4)
	v_fma_f32 v2, -0.5, v19, v2
	v_sub_f32_e32 v19, v9, v15
	v_fmac_f32_e32 v1, 0x3f5db3d7, v18
	v_add_f32_e32 v18, v26, v14
	s_wait_dscnt 0x0
	v_dual_add_f32 v26, v10, v38 :: v_dual_add_f32 v9, v3, v9
	v_sub_f32_e32 v14, v8, v14
	v_fmamk_f32 v8, v19, 0x3f5db3d7, v2
	v_fmac_f32_e32 v2, 0xbf5db3d7, v19
	global_wb scope:SCOPE_SE
	v_add_f32_e32 v19, v9, v15
	v_add_f32_e32 v15, v24, v10
	v_fmac_f32_e32 v3, -0.5, v27
	v_fma_f32 v24, -0.5, v26, v24
	v_sub_f32_e32 v26, v11, v39
	v_dual_add_f32 v27, v11, v39 :: v_dual_sub_f32 v10, v10, v38
	v_add_f32_e32 v11, v25, v11
	s_barrier_signal -1
	s_delay_alu instid0(VALU_DEP_3)
	v_fmamk_f32 v34, v26, 0x3f5db3d7, v24
	v_fmac_f32_e32 v24, 0xbf5db3d7, v26
	s_barrier_wait -1
	v_add_f32_e32 v33, v11, v39
	v_add_f32_e32 v11, v30, v36
	v_fmac_f32_e32 v25, -0.5, v27
	global_inv scope:SCOPE_SE
	s_wait_alu 0xf1ff
	v_add_co_ci_u32_e64 v168, null, 0, 0, s2
	v_mul_u32_u24_e32 v163, 3, v167
	v_fmamk_f32 v35, v10, 0xbf5db3d7, v25
	v_dual_fmac_f32 v25, 0x3f5db3d7, v10 :: v_dual_add_f32 v10, v37, v29
	v_dual_add_f32 v32, v15, v38 :: v_dual_fmamk_f32 v9, v14, 0xbf5db3d7, v3
	v_dual_fmac_f32 v3, 0x3f5db3d7, v14 :: v_dual_add_f32 v14, v36, v28
	v_mul_lo_u16 v15, v154, 3
	s_delay_alu instid0(VALU_DEP_2) | instskip(SKIP_3) | instid1(VALU_DEP_3)
	v_fmac_f32_e32 v30, -0.5, v14
	v_dual_add_f32 v14, v31, v37 :: v_dual_fmac_f32 v31, -0.5, v10
	v_sub_f32_e32 v10, v36, v28
	v_dual_add_f32 v26, v11, v28 :: v_dual_sub_f32 v11, v37, v29
	v_add_f32_e32 v27, v14, v29
	s_delay_alu instid0(VALU_DEP_3) | instskip(SKIP_2) | instid1(VALU_DEP_1)
	v_fmamk_f32 v29, v10, 0xbf5db3d7, v31
	v_fmac_f32_e32 v31, 0x3f5db3d7, v10
	v_mul_u32_u24_e32 v10, 3, v63
	v_lshlrev_b32_e32 v160, 3, v10
	v_fmamk_f32 v28, v11, 0x3f5db3d7, v30
	v_fmac_f32_e32 v30, 0xbf5db3d7, v11
	v_and_b32_e32 v11, 0xffff, v15
	v_mul_u32_u24_e32 v10, 3, v62
	s_delay_alu instid0(VALU_DEP_2)
	v_lshlrev_b32_e32 v161, 3, v11
	ds_store_2addr_b64 v161, v[40:41], v[20:21] offset1:1
	ds_store_b64 v161, v[4:5] offset:16
	v_mul_u32_u24_e32 v4, 3, v61
	v_mul_u32_u24_e32 v5, 3, v60
	v_lshlrev_b32_e32 v165, 3, v10
	ds_store_2addr_b64 v160, v[42:43], v[16:17] offset1:1
	ds_store_b64 v160, v[6:7] offset:16
	ds_store_2addr_b64 v165, v[22:23], v[12:13] offset1:1
	ds_store_b64 v165, v[0:1] offset:16
	v_lshlrev_b32_e32 v162, 3, v5
	v_lshlrev_b32_e32 v164, 3, v4
	ds_store_2addr_b64 v164, v[18:19], v[8:9] offset1:1
	ds_store_b64 v164, v[2:3] offset:16
	ds_store_2addr_b64 v162, v[32:33], v[34:35] offset1:1
	ds_store_b64 v162, v[24:25] offset:16
	s_and_saveexec_b32 s2, vcc_lo
	s_cbranch_execz .LBB0_7
; %bb.6:
	v_lshlrev_b32_e32 v0, 3, v163
	ds_store_2addr_b64 v0, v[26:27], v[28:29] offset1:1
	ds_store_b64 v0, v[30:31] offset:16
.LBB0_7:
	s_wait_alu 0xfffe
	s_or_b32 exec_lo, exec_lo, s2
	v_add_nc_u32_e32 v1, 0x800, v153
	v_add_nc_u32_e32 v2, 0x1000, v153
	;; [unrolled: 1-line block ×3, first 2 shown]
	global_wb scope:SCOPE_SE
	s_wait_dscnt 0x0
	s_barrier_signal -1
	s_barrier_wait -1
	global_inv scope:SCOPE_SE
	ds_load_2addr_b64 v[36:39], v153 offset1:54
	ds_load_2addr_b64 v[56:59], v153 offset0:144 offset1:198
	ds_load_2addr_b64 v[52:55], v1 offset0:32 offset1:86
	ds_load_2addr_b64 v[48:51], v1 offset0:176 offset1:230
	ds_load_2addr_b64 v[44:47], v2 offset0:64 offset1:118
	ds_load_2addr_b64 v[40:43], v0 offset0:80 offset1:134
	s_load_b64 s[2:3], s[0:1], 0x8
	v_cmp_gt_u16_e64 s0, 36, v154
	s_delay_alu instid0(VALU_DEP_1)
	s_and_saveexec_b32 s1, s0
	s_cbranch_execz .LBB0_9
; %bb.8:
	v_add_nc_u32_e32 v1, 0xc00, v153
	ds_load_2addr_b64 v[28:31], v0 offset0:44 offset1:188
	ds_load_2addr_b64 v[24:27], v1 offset0:12 offset1:156
	;; [unrolled: 1-line block ×3, first 2 shown]
.LBB0_9:
	s_wait_alu 0xfffe
	s_or_b32 exec_lo, exec_lo, s1
	v_and_b32_e32 v64, 0xff, v154
	v_and_b32_e32 v1, 0xff, v63
	v_and_b32_e32 v2, 0xff, v62
	s_delay_alu instid0(VALU_DEP_3) | instskip(NEXT) | instid1(VALU_DEP_1)
	v_mul_lo_u16 v0, 0xab, v64
	v_lshrrev_b16 v67, 9, v0
	s_delay_alu instid0(VALU_DEP_4) | instskip(NEXT) | instid1(VALU_DEP_2)
	v_mul_lo_u16 v0, 0xab, v1
	v_mul_lo_u16 v1, v67, 3
	s_delay_alu instid0(VALU_DEP_2) | instskip(NEXT) | instid1(VALU_DEP_2)
	v_lshrrev_b16 v68, 9, v0
	v_sub_nc_u16 v0, v154, v1
	v_mul_lo_u16 v1, 0xab, v2
	s_delay_alu instid0(VALU_DEP_3) | instskip(NEXT) | instid1(VALU_DEP_3)
	v_mul_lo_u16 v2, v68, 3
	v_and_b32_e32 v69, 0xff, v0
	s_delay_alu instid0(VALU_DEP_3) | instskip(NEXT) | instid1(VALU_DEP_3)
	v_lshrrev_b16 v70, 9, v1
	v_sub_nc_u16 v2, v63, v2
	s_wait_kmcnt 0x0
	s_delay_alu instid0(VALU_DEP_3) | instskip(NEXT) | instid1(VALU_DEP_3)
	v_mad_co_u64_u32 v[0:1], null, v69, 40, s[2:3]
	v_mul_lo_u16 v3, v70, 3
	s_delay_alu instid0(VALU_DEP_1)
	v_sub_nc_u16 v4, v62, v3
	s_clause 0x1
	global_load_b128 v[20:23], v[0:1], off
	global_load_b128 v[16:19], v[0:1], off offset:16
	v_and_b32_e32 v71, 0xff, v2
	v_and_b32_e32 v157, 0xffff, v70
	;; [unrolled: 1-line block ×3, first 2 shown]
	s_wait_loadcnt_dscnt 0x2
	v_dual_mul_f32 v72, v53, v23 :: v_dual_mul_f32 v75, v48, v17
	v_mul_f32_e32 v74, v49, v17
	v_mad_co_u64_u32 v[2:3], null, v71, 40, s[2:3]
	v_mad_co_u64_u32 v[65:66], null, v156, 40, s[2:3]
	s_clause 0x6
	global_load_b64 v[149:150], v[0:1], off offset:32
	global_load_b128 v[12:15], v[2:3], off
	global_load_b128 v[8:11], v[2:3], off offset:16
	global_load_b64 v[147:148], v[2:3], off offset:32
	global_load_b128 v[4:7], v[65:66], off
	global_load_b128 v[0:3], v[65:66], off offset:16
	global_load_b64 v[145:146], v[65:66], off offset:32
	v_and_b32_e32 v65, 0xffff, v67
	s_wait_dscnt 0x1
	v_dual_mul_f32 v77, v44, v19 :: v_dual_and_b32 v66, 0xffff, v68
	v_mul_f32_e32 v73, v52, v23
	v_mul_f32_e32 v76, v45, v19
	;; [unrolled: 1-line block ×3, first 2 shown]
	s_delay_alu instid0(VALU_DEP_4)
	v_mul_u32_u24_e32 v66, 18, v66
	v_fma_f32 v52, v52, v22, -v72
	v_fma_f32 v48, v48, v16, -v74
	v_fma_f32 v44, v44, v18, -v76
	global_wb scope:SCOPE_SE
	s_wait_loadcnt_dscnt 0x0
	v_add_lshl_u32 v158, v66, v71, 3
	v_mul_f32_e32 v71, v56, v21
	v_fma_f32 v56, v56, v20, -v70
	s_barrier_signal -1
	s_barrier_wait -1
	global_inv scope:SCOPE_SE
	v_dual_mul_f32 v85, v50, v9 :: v_dual_mul_f32 v86, v47, v11
	v_mul_f32_e32 v78, v41, v150
	v_mul_u32_u24_e32 v65, 18, v65
	v_dual_mul_f32 v79, v40, v150 :: v_dual_mul_f32 v80, v59, v13
	v_dual_mul_f32 v81, v58, v13 :: v_dual_mul_f32 v82, v55, v15
	s_delay_alu instid0(VALU_DEP_3)
	v_add_lshl_u32 v159, v65, v69, 3
	v_dual_mul_f32 v83, v54, v15 :: v_dual_mul_f32 v84, v51, v9
	v_dual_mul_f32 v65, v34, v5 :: v_dual_mul_f32 v68, v24, v7
	v_dual_mul_f32 v69, v26, v1 :: v_dual_mul_f32 v66, v28, v3
	v_dual_mul_f32 v87, v46, v11 :: v_dual_mul_f32 v88, v43, v148
	v_dual_mul_f32 v89, v42, v148 :: v_dual_mul_f32 v90, v35, v5
	v_dual_mul_f32 v91, v25, v7 :: v_dual_mul_f32 v92, v27, v1
	v_dual_mul_f32 v93, v29, v3 :: v_dual_mul_f32 v94, v31, v146
	v_mul_f32_e32 v67, v30, v146
	v_fma_f32 v40, v40, v149, -v78
	v_fmac_f32_e32 v73, v53, v22
	v_fmac_f32_e32 v79, v41, v149
	v_dual_fmac_f32 v81, v59, v12 :: v_dual_fmac_f32 v68, v25, v6
	v_fma_f32 v41, v54, v14, -v82
	v_fmac_f32_e32 v71, v57, v20
	v_fmac_f32_e32 v83, v55, v14
	;; [unrolled: 1-line block ×3, first 2 shown]
	v_dual_fmac_f32 v85, v51, v8 :: v_dual_fmac_f32 v66, v29, v2
	v_fma_f32 v49, v58, v12, -v80
	v_fma_f32 v46, v46, v10, -v86
	;; [unrolled: 1-line block ×3, first 2 shown]
	v_fmac_f32_e32 v89, v43, v147
	v_fma_f32 v25, v26, v0, -v92
	v_dual_fmac_f32 v69, v27, v0 :: v_dual_sub_f32 v78, v68, v66
	v_fma_f32 v26, v30, v145, -v94
	v_dual_sub_f32 v43, v52, v44 :: v_dual_add_f32 v54, v38, v41
	v_dual_add_f32 v58, v39, v83 :: v_dual_fmac_f32 v77, v45, v18
	v_fma_f32 v45, v50, v8, -v84
	v_fmac_f32_e32 v65, v35, v4
	v_fma_f32 v35, v24, v6, -v91
	v_fma_f32 v24, v28, v2, -v93
	v_add_f32_e32 v28, v52, v44
	v_dual_add_f32 v72, v45, v42 :: v_dual_fmac_f32 v67, v31, v145
	v_add_f32_e32 v80, v68, v66
	v_dual_add_f32 v27, v36, v52 :: v_dual_add_f32 v52, v71, v75
	v_dual_fmac_f32 v87, v47, v10 :: v_dual_add_f32 v74, v81, v85
	v_add_f32_e32 v50, v48, v40
	v_add_f32_e32 v30, v37, v73
	v_dual_add_f32 v31, v73, v77 :: v_dual_sub_f32 v82, v35, v24
	v_add_f32_e32 v47, v56, v48
	v_sub_f32_e32 v48, v48, v40
	s_delay_alu instid0(VALU_DEP_4)
	v_add_f32_e32 v30, v30, v77
	v_sub_f32_e32 v70, v41, v46
	v_sub_f32_e32 v84, v69, v67
	v_dual_add_f32 v55, v41, v46 :: v_dual_add_f32 v44, v27, v44
	v_add_f32_e32 v41, v49, v45
	v_fma_f32 v88, -0.5, v28, v36
	v_add_f32_e32 v36, v52, v79
	v_add_f32_e32 v53, v75, v79
	v_dual_sub_f32 v29, v73, v77 :: v_dual_add_f32 v76, v35, v24
	v_dual_sub_f32 v51, v75, v79 :: v_dual_fmac_f32 v56, -0.5, v50
	v_sub_f32_e32 v73, v85, v89
	v_fma_f32 v77, -0.5, v31, v37
	v_add_f32_e32 v37, v54, v46
	v_fma_f32 v79, -0.5, v55, v38
	v_add_f32_e32 v38, v58, v87
	v_dual_add_f32 v46, v41, v42 :: v_dual_fmac_f32 v49, -0.5, v72
	v_add_f32_e32 v31, v47, v40
	v_fmac_f32_e32 v71, -0.5, v53
	v_dual_add_f32 v75, v85, v89 :: v_dual_fmamk_f32 v54, v51, 0x3f5db3d7, v56
	v_dual_sub_f32 v45, v45, v42 :: v_dual_fmac_f32 v56, 0xbf5db3d7, v51
	s_delay_alu instid0(VALU_DEP_3)
	v_fmamk_f32 v51, v48, 0xbf5db3d7, v71
	v_fmac_f32_e32 v71, 0x3f5db3d7, v48
	v_fma_f32 v34, v34, v4, -v90
	v_sub_f32_e32 v57, v83, v87
	v_fma_f32 v27, -0.5, v76, v32
	v_fmamk_f32 v48, v73, 0x3f5db3d7, v49
	v_dual_mul_f32 v76, -0.5, v71 :: v_dual_fmamk_f32 v53, v29, 0x3f5db3d7, v88
	v_dual_fmac_f32 v88, 0xbf5db3d7, v29 :: v_dual_add_f32 v59, v83, v87
	v_fmamk_f32 v72, v57, 0x3f5db3d7, v79
	v_dual_add_f32 v83, v25, v26 :: v_dual_add_f32 v40, v44, v31
	v_sub_f32_e32 v42, v44, v31
	v_sub_f32_e32 v86, v25, v26
	v_fma_f32 v28, -0.5, v80, v33
	s_delay_alu instid0(VALU_DEP_4)
	v_fma_f32 v50, -0.5, v83, v34
	v_add_f32_e32 v47, v74, v89
	v_fmac_f32_e32 v81, -0.5, v75
	v_fmamk_f32 v55, v43, 0xbf5db3d7, v77
	v_fmac_f32_e32 v79, 0xbf5db3d7, v57
	v_dual_fmamk_f32 v58, v84, 0x3f5db3d7, v50 :: v_dual_fmac_f32 v39, -0.5, v59
	v_add_f32_e32 v44, v37, v46
	v_add_f32_e32 v85, v69, v67
	v_sub_f32_e32 v46, v37, v46
	v_fmac_f32_e32 v76, 0xbf5db3d7, v56
	v_fmamk_f32 v74, v70, 0xbf5db3d7, v39
	v_fmac_f32_e32 v50, 0xbf5db3d7, v84
	v_fma_f32 v52, -0.5, v85, v65
	v_fmac_f32_e32 v77, 0x3f5db3d7, v43
	s_delay_alu instid0(VALU_DEP_2) | instskip(SKIP_3) | instid1(VALU_DEP_2)
	v_fmamk_f32 v59, v86, 0xbf5db3d7, v52
	v_fmac_f32_e32 v52, 0x3f5db3d7, v86
	v_dual_fmac_f32 v39, 0x3f5db3d7, v70 :: v_dual_mul_f32 v70, 0x3f5db3d7, v51
	v_sub_f32_e32 v43, v30, v36
	v_dual_fmac_f32 v49, 0xbf5db3d7, v73 :: v_dual_fmac_f32 v70, 0.5, v54
	s_delay_alu instid0(VALU_DEP_1) | instskip(SKIP_4) | instid1(VALU_DEP_4)
	v_dual_add_f32 v41, v30, v36 :: v_dual_mul_f32 v80, -0.5, v49
	v_dual_fmamk_f32 v30, v82, 0xbf5db3d7, v28 :: v_dual_fmamk_f32 v57, v45, 0xbf5db3d7, v81
	v_dual_mul_f32 v36, 0x3f5db3d7, v59 :: v_dual_fmamk_f32 v29, v78, 0x3f5db3d7, v27
	v_fmac_f32_e32 v27, 0xbf5db3d7, v78
	v_fmac_f32_e32 v28, 0x3f5db3d7, v82
	v_mul_f32_e32 v78, 0x3f5db3d7, v57
	v_fmac_f32_e32 v81, 0x3f5db3d7, v45
	v_mul_f32_e32 v82, 0xbf5db3d7, v48
	v_fmac_f32_e32 v36, 0.5, v58
	s_delay_alu instid0(VALU_DEP_4) | instskip(NEXT) | instid1(VALU_DEP_4)
	v_dual_fmac_f32 v78, 0.5, v48 :: v_dual_add_f32 v45, v38, v47
	v_dual_fmac_f32 v80, 0x3f5db3d7, v81 :: v_dual_sub_f32 v47, v38, v47
	s_delay_alu instid0(VALU_DEP_4)
	v_fmac_f32_e32 v82, 0.5, v57
	v_mul_f32_e32 v38, -0.5, v52
	v_mul_f32_e32 v73, -0.5, v56
	;; [unrolled: 1-line block ×3, first 2 shown]
	v_mul_f32_e32 v37, 0xbf5db3d7, v58
	v_add_f32_e32 v56, v72, v78
	v_fmac_f32_e32 v38, 0xbf5db3d7, v50
	v_fmac_f32_e32 v73, 0x3f5db3d7, v71
	v_mul_f32_e32 v75, 0xbf5db3d7, v54
	v_dual_mul_f32 v83, -0.5, v81 :: v_dual_add_f32 v48, v53, v70
	v_add_f32_e32 v58, v79, v80
	v_dual_fmac_f32 v31, 0x3f5db3d7, v52 :: v_dual_sub_f32 v52, v53, v70
	s_delay_alu instid0(VALU_DEP_4) | instskip(SKIP_3) | instid1(VALU_DEP_4)
	v_dual_sub_f32 v54, v88, v73 :: v_dual_fmac_f32 v75, 0.5, v51
	v_sub_f32_e32 v70, v72, v78
	v_dual_sub_f32 v72, v79, v80 :: v_dual_fmac_f32 v37, 0.5, v59
	v_dual_fmac_f32 v83, 0xbf5db3d7, v49 :: v_dual_sub_f32 v104, v29, v36
	v_dual_add_f32 v50, v88, v73 :: v_dual_add_f32 v49, v55, v75
	v_dual_add_f32 v51, v77, v76 :: v_dual_sub_f32 v106, v27, v31
	s_delay_alu instid0(VALU_DEP_4)
	v_sub_f32_e32 v105, v30, v37
	v_sub_f32_e32 v107, v28, v38
	;; [unrolled: 1-line block ×4, first 2 shown]
	v_add_f32_e32 v57, v74, v82
	v_add_f32_e32 v59, v39, v83
	v_sub_f32_e32 v71, v74, v82
	v_sub_f32_e32 v73, v39, v83
	ds_store_2addr_b64 v159, v[40:41], v[48:49] offset1:3
	ds_store_2addr_b64 v159, v[50:51], v[42:43] offset0:6 offset1:9
	ds_store_2addr_b64 v159, v[52:53], v[54:55] offset0:12 offset1:15
	ds_store_2addr_b64 v158, v[44:45], v[56:57] offset1:3
	ds_store_2addr_b64 v158, v[58:59], v[46:47] offset0:6 offset1:9
	ds_store_2addr_b64 v158, v[70:71], v[72:73] offset0:12 offset1:15
	s_and_saveexec_b32 s1, s0
	s_cbranch_execz .LBB0_11
; %bb.10:
	v_dual_add_f32 v33, v33, v68 :: v_dual_add_f32 v32, v32, v35
	v_add_f32_e32 v39, v65, v69
	v_add_f32_e32 v25, v34, v25
	;; [unrolled: 1-line block ×3, first 2 shown]
	s_delay_alu instid0(VALU_DEP_4) | instskip(NEXT) | instid1(VALU_DEP_4)
	v_add_f32_e32 v34, v33, v66
	v_dual_add_f32 v24, v32, v24 :: v_dual_add_f32 v35, v39, v67
	s_delay_alu instid0(VALU_DEP_4) | instskip(SKIP_2) | instid1(VALU_DEP_3)
	v_add_f32_e32 v26, v25, v26
	v_dual_add_f32 v25, v28, v38 :: v_dual_add_f32 v30, v30, v37
	v_mul_u32_u24_e32 v28, 18, v157
	v_dual_sub_f32 v33, v34, v35 :: v_dual_sub_f32 v32, v24, v26
	v_dual_add_f32 v35, v34, v35 :: v_dual_add_f32 v34, v24, v26
	s_delay_alu instid0(VALU_DEP_3)
	v_add_lshl_u32 v26, v28, v156, 3
	v_add_f32_e32 v24, v27, v31
	ds_store_2addr_b64 v26, v[34:35], v[29:30] offset1:3
	ds_store_2addr_b64 v26, v[24:25], v[32:33] offset0:6 offset1:9
	ds_store_2addr_b64 v26, v[104:105], v[106:107] offset0:12 offset1:15
.LBB0_11:
	s_wait_alu 0xfffe
	s_or_b32 exec_lo, exec_lo, s1
	v_mul_lo_u16 v24, v64, 57
	global_wb scope:SCOPE_SE
	s_wait_dscnt 0x0
	s_barrier_signal -1
	s_barrier_wait -1
	global_inv scope:SCOPE_SE
	v_lshrrev_b16 v38, 10, v24
	s_delay_alu instid0(VALU_DEP_1) | instskip(NEXT) | instid1(VALU_DEP_1)
	v_mul_lo_u16 v24, v38, 18
	v_sub_nc_u16 v24, v154, v24
	s_delay_alu instid0(VALU_DEP_1) | instskip(NEXT) | instid1(VALU_DEP_1)
	v_and_b32_e32 v72, 0xff, v24
	v_mad_co_u64_u32 v[36:37], null, 0x78, v72, s[2:3]
	s_clause 0x7
	global_load_b128 v[52:55], v[36:37], off offset:120
	global_load_b128 v[44:47], v[36:37], off offset:136
	;; [unrolled: 1-line block ×7, first 2 shown]
	global_load_b64 v[151:152], v[36:37], off offset:232
	ds_load_2addr_b64 v[56:59], v153 offset0:108 offset1:162
	v_and_b32_e32 v64, 0xffff, v38
	v_add_nc_u32_e32 v88, 0x400, v153
	v_add_nc_u32_e32 v169, 0x800, v153
	ds_load_2addr_b64 v[36:39], v153 offset1:54
	s_wait_loadcnt_dscnt 0x701
	v_mul_f32_e32 v92, v57, v55
	ds_load_2addr_b64 v[68:71], v169 offset0:68 offset1:122
	v_mul_f32_e32 v93, v56, v55
	v_mul_u32_u24_e32 v73, 0x120, v64
	ds_load_2addr_b64 v[64:67], v88 offset0:88 offset1:142
	v_add_nc_u32_e32 v171, 0x1000, v153
	v_add_nc_u32_e32 v170, 0x1400, v153
	s_wait_dscnt 0x2
	v_mul_f32_e32 v91, v38, v53
	v_or_b32_e32 v89, v73, v72
	s_wait_loadcnt 0x6
	v_mul_f32_e32 v95, v58, v45
	v_dual_mul_f32 v90, v39, v53 :: v_dual_fmac_f32 v93, v57, v54
	s_delay_alu instid0(VALU_DEP_1)
	v_fma_f32 v38, v38, v52, -v90
	s_wait_loadcnt_dscnt 0x501
	v_mul_f32_e32 v100, v69, v35
	v_mul_f32_e32 v101, v68, v35
	s_wait_dscnt 0x0
	v_mul_f32_e32 v96, v65, v47
	ds_load_2addr_b64 v[72:75], v169 offset0:176 offset1:230
	ds_load_2addr_b64 v[76:79], v171 offset0:28 offset1:82
	ds_load_2addr_b64 v[80:83], v171 offset0:136 offset1:190
	ds_load_2addr_b64 v[84:87], v170 offset0:116 offset1:170
	v_lshlrev_b32_e32 v166, 3, v89
	v_dual_mul_f32 v94, v59, v45 :: v_dual_mul_f32 v97, v64, v47
	v_mul_f32_e32 v98, v67, v33
	v_mul_f32_e32 v99, v66, v33
	s_wait_loadcnt 0x4
	v_mul_f32_e32 v102, v71, v25
	v_mul_f32_e32 v103, v70, v25
	v_fma_f32 v57, v64, v46, -v96
	v_fmac_f32_e32 v97, v65, v46
	global_wb scope:SCOPE_SE
	s_wait_loadcnt_dscnt 0x0
	s_barrier_signal -1
	s_barrier_wait -1
	global_inv scope:SCOPE_SE
	v_mul_f32_e32 v108, v73, v27
	v_mul_f32_e32 v172, v77, v51
	v_mul_f32_e32 v109, v72, v27
	v_dual_mul_f32 v110, v75, v49 :: v_dual_add_nc_u32 v89, 0x400, v166
	v_mul_f32_e32 v183, v86, v152
	v_dual_mul_f32 v177, v80, v43 :: v_dual_mul_f32 v178, v83, v29
	v_dual_mul_f32 v179, v82, v29 :: v_dual_mul_f32 v182, v87, v152
	;; [unrolled: 1-line block ×4, first 2 shown]
	v_mul_f32_e32 v181, v84, v31
	v_fma_f32 v64, v70, v24, -v102
	v_fma_f32 v65, v72, v26, -v108
	;; [unrolled: 1-line block ×4, first 2 shown]
	v_fmac_f32_e32 v183, v87, v151
	v_fmac_f32_e32 v177, v81, v42
	;; [unrolled: 1-line block ×3, first 2 shown]
	v_fma_f32 v39, v56, v54, -v92
	v_fma_f32 v56, v58, v44, -v94
	;; [unrolled: 1-line block ×3, first 2 shown]
	v_fmac_f32_e32 v103, v71, v24
	v_fma_f32 v66, v74, v48, -v110
	v_fmac_f32_e32 v99, v67, v32
	v_fma_f32 v67, v76, v50, -v172
	v_dual_fmac_f32 v173, v77, v50 :: v_dual_sub_f32 v72, v64, v72
	s_delay_alu instid0(VALU_DEP_4)
	v_dual_sub_f32 v65, v36, v65 :: v_dual_sub_f32 v66, v38, v66
	v_dual_sub_f32 v70, v58, v70 :: v_dual_fmac_f32 v179, v83, v28
	v_fmac_f32_e32 v101, v69, v34
	v_fma_f32 v69, v80, v42, -v176
	v_sub_f32_e32 v80, v103, v183
	v_dual_sub_f32 v74, v97, v177 :: v_dual_fmac_f32 v111, v75, v48
	v_dual_mul_f32 v175, v78, v41 :: v_dual_mul_f32 v180, v85, v31
	v_fma_f32 v58, v58, 2.0, -v70
	s_delay_alu instid0(VALU_DEP_3)
	v_fma_f32 v81, v97, 2.0, -v74
	v_dual_sub_f32 v74, v65, v74 :: v_dual_sub_f32 v67, v39, v67
	v_fmac_f32_e32 v181, v85, v30
	v_fmac_f32_e32 v95, v59, v44
	v_fma_f32 v59, v68, v34, -v100
	v_fma_f32 v68, v78, v40, -v174
	v_sub_f32_e32 v77, v91, v111
	v_fmac_f32_e32 v109, v73, v26
	v_fma_f32 v71, v84, v30, -v180
	v_fma_f32 v87, v103, 2.0, -v80
	v_sub_f32_e32 v68, v56, v68
	v_add_f32_e32 v70, v77, v70
	v_sub_f32_e32 v78, v99, v179
	v_dual_fmac_f32 v175, v79, v40 :: v_dual_sub_f32 v76, v101, v181
	s_delay_alu instid0(VALU_DEP_4) | instskip(SKIP_1) | instid1(VALU_DEP_4)
	v_sub_f32_e32 v80, v68, v80
	v_fma_f32 v38, v38, 2.0, -v66
	v_fma_f32 v85, v99, 2.0, -v78
	s_delay_alu instid0(VALU_DEP_4) | instskip(NEXT) | instid1(VALU_DEP_3)
	v_dual_sub_f32 v78, v66, v78 :: v_dual_sub_f32 v79, v95, v175
	v_dual_sub_f32 v73, v37, v109 :: v_dual_sub_f32 v58, v38, v58
	s_delay_alu instid0(VALU_DEP_2)
	v_dual_sub_f32 v75, v93, v173 :: v_dual_fmamk_f32 v92, v80, 0x3f3504f3, v78
	v_fma_f32 v83, v101, 2.0, -v76
	v_fma_f32 v56, v56, 2.0, -v68
	v_fma_f32 v64, v64, 2.0, -v72
	v_sub_f32_e32 v76, v67, v76
	v_add_f32_e32 v72, v79, v72
	v_fma_f32 v66, v66, 2.0, -v78
	v_fma_f32 v68, v68, 2.0, -v80
	v_sub_f32_e32 v71, v59, v71
	v_dual_sub_f32 v69, v57, v69 :: v_dual_sub_f32 v64, v56, v64
	v_fma_f32 v37, v37, 2.0, -v73
	v_fmamk_f32 v90, v76, 0x3f3504f3, v74
	s_delay_alu instid0(VALU_DEP_4)
	v_fma_f32 v59, v59, 2.0, -v71
	v_dual_fmac_f32 v92, 0xbf3504f3, v72 :: v_dual_add_f32 v71, v75, v71
	v_fma_f32 v36, v36, 2.0, -v65
	v_fma_f32 v57, v57, 2.0, -v69
	;; [unrolled: 1-line block ×4, first 2 shown]
	v_dual_sub_f32 v81, v37, v81 :: v_dual_fmac_f32 v90, 0xbf3504f3, v71
	v_fma_f32 v82, v93, 2.0, -v75
	v_fma_f32 v86, v95, 2.0, -v79
	;; [unrolled: 1-line block ×3, first 2 shown]
	v_sub_f32_e32 v59, v39, v59
	v_fma_f32 v67, v67, 2.0, -v76
	v_add_f32_e32 v69, v73, v69
	v_sub_f32_e32 v85, v84, v85
	v_fmamk_f32 v108, v92, 0x3f6c835e, v90
	v_add_f32_e32 v96, v81, v59
	v_fma_f32 v75, v75, 2.0, -v71
	v_sub_f32_e32 v57, v36, v57
	v_fma_f32 v77, v77, 2.0, -v70
	v_fma_f32 v79, v79, 2.0, -v72
	v_fma_f32 v95, v37, 2.0, -v81
	v_sub_f32_e32 v83, v82, v83
	v_fma_f32 v94, v36, 2.0, -v57
	v_fma_f32 v36, v39, 2.0, -v59
	;; [unrolled: 1-line block ×4, first 2 shown]
	v_sub_f32_e32 v87, v86, v87
	v_fma_f32 v56, v56, 2.0, -v64
	v_fmamk_f32 v84, v67, 0xbf3504f3, v65
	v_fma_f32 v73, v73, 2.0, -v69
	v_fma_f32 v37, v82, 2.0, -v83
	;; [unrolled: 1-line block ×3, first 2 shown]
	s_delay_alu instid0(VALU_DEP_4) | instskip(NEXT) | instid1(VALU_DEP_4)
	v_dual_fmamk_f32 v97, v79, 0xbf3504f3, v77 :: v_dual_fmac_f32 v84, 0xbf3504f3, v75
	v_fmamk_f32 v86, v75, 0xbf3504f3, v73
	v_fmamk_f32 v91, v71, 0x3f3504f3, v69
	v_sub_f32_e32 v59, v38, v56
	v_sub_f32_e32 v71, v58, v87
	v_dual_fmamk_f32 v93, v72, 0x3f3504f3, v70 :: v_dual_sub_f32 v72, v94, v36
	v_fmac_f32_e32 v86, 0x3f3504f3, v67
	s_delay_alu instid0(VALU_DEP_4) | instskip(SKIP_4) | instid1(VALU_DEP_3)
	v_fma_f32 v67, v38, 2.0, -v59
	v_fmac_f32_e32 v91, 0x3f3504f3, v76
	v_dual_fmamk_f32 v76, v68, 0xbf3504f3, v66 :: v_dual_add_f32 v87, v85, v64
	v_dual_fmac_f32 v93, 0x3f3504f3, v80 :: v_dual_sub_f32 v80, v95, v37
	v_fma_f32 v99, v74, 2.0, -v90
	v_fmac_f32_e32 v76, 0xbf3504f3, v79
	v_fma_f32 v78, v78, 2.0, -v92
	v_sub_f32_e32 v83, v57, v83
	v_fma_f32 v79, v94, 2.0, -v72
	v_dual_sub_f32 v64, v39, v82 :: v_dual_fmac_f32 v97, 0x3f3504f3, v68
	s_delay_alu instid0(VALU_DEP_4) | instskip(NEXT) | instid1(VALU_DEP_4)
	v_fmamk_f32 v56, v78, 0xbec3ef15, v99
	v_fma_f32 v98, v57, 2.0, -v83
	v_fma_f32 v81, v81, 2.0, -v96
	v_fma_f32 v74, v58, 2.0, -v71
	v_fma_f32 v75, v85, 2.0, -v87
	v_fma_f32 v70, v70, 2.0, -v93
	v_fma_f32 v82, v95, 2.0, -v80
	v_fma_f32 v95, v66, 2.0, -v76
	v_sub_f32_e32 v66, v79, v67
	v_fma_f32 v100, v69, 2.0, -v91
	v_fmamk_f32 v37, v87, 0x3f3504f3, v96
	v_fmamk_f32 v109, v93, 0x3f6c835e, v91
	v_fma_f32 v85, v65, 2.0, -v84
	v_fma_f32 v94, v73, 2.0, -v86
	;; [unrolled: 1-line block ×4, first 2 shown]
	v_sub_f32_e32 v58, v72, v64
	v_fmamk_f32 v36, v71, 0x3f3504f3, v83
	v_dual_fmamk_f32 v38, v74, 0xbf3504f3, v98 :: v_dual_fmamk_f32 v39, v75, 0xbf3504f3, v81
	v_fmamk_f32 v57, v70, 0xbec3ef15, v100
	v_fmamk_f32 v64, v76, 0x3ec3ef15, v84
	s_delay_alu instid0(VALU_DEP_4)
	v_fmac_f32_e32 v36, 0xbf3504f3, v87
	v_fmamk_f32 v65, v97, 0x3ec3ef15, v86
	v_dual_add_f32 v59, v80, v59 :: v_dual_fmac_f32 v108, 0xbec3ef15, v93
	v_fmac_f32_e32 v37, 0x3f3504f3, v71
	v_fmac_f32_e32 v109, 0x3ec3ef15, v92
	v_dual_sub_f32 v67, v82, v68 :: v_dual_fmamk_f32 v68, v95, 0xbf6c835e, v85
	v_fmamk_f32 v69, v77, 0xbf6c835e, v94
	v_fmac_f32_e32 v38, 0xbf3504f3, v75
	v_fmac_f32_e32 v39, 0x3f3504f3, v74
	;; [unrolled: 1-line block ×6, first 2 shown]
	v_fma_f32 v70, v72, 2.0, -v58
	v_fma_f32 v72, v83, 2.0, -v36
	;; [unrolled: 1-line block ×5, first 2 shown]
	v_fmac_f32_e32 v68, 0xbec3ef15, v77
	v_fmac_f32_e32 v69, 0x3ec3ef15, v95
	ds_store_2addr_b64 v89, v[36:37], v[108:109] offset0:124 offset1:142
	v_fma_f32 v36, v79, 2.0, -v66
	v_fma_f32 v76, v98, 2.0, -v38
	;; [unrolled: 1-line block ×9, first 2 shown]
	ds_store_2addr_b64 v166, v[72:73], v[74:75] offset0:108 offset1:126
	ds_store_2addr_b64 v166, v[38:39], v[56:57] offset0:180 offset1:198
	v_fma_f32 v38, v85, 2.0, -v68
	v_fma_f32 v39, v94, 2.0, -v69
	ds_store_2addr_b64 v166, v[58:59], v[64:65] offset0:216 offset1:234
	ds_store_2addr_b64 v166, v[76:77], v[78:79] offset0:36 offset1:54
	;; [unrolled: 1-line block ×4, first 2 shown]
	ds_store_2addr_b64 v166, v[36:37], v[38:39] offset1:18
	global_wb scope:SCOPE_SE
	s_wait_dscnt 0x0
	s_barrier_signal -1
	s_barrier_wait -1
	global_inv scope:SCOPE_SE
	ds_load_2addr_b64 v[84:87], v153 offset1:54
	ds_load_2addr_b64 v[76:79], v88 offset0:88 offset1:160
	ds_load_2addr_b64 v[88:91], v171 offset0:64 offset1:118
	;; [unrolled: 1-line block ×6, first 2 shown]
	ds_load_b64 v[110:111], v153 offset:6336
	s_and_saveexec_b32 s1, vcc_lo
	s_cbranch_execz .LBB0_13
; %bb.12:
	ds_load_b64 v[108:109], v153 offset:2160
	ds_load_b64 v[104:105], v153 offset:4464
	;; [unrolled: 1-line block ×3, first 2 shown]
.LBB0_13:
	s_wait_alu 0xfffe
	s_or_b32 exec_lo, exec_lo, s1
	v_lshlrev_b32_e32 v36, 4, v154
	global_load_b128 v[72:75], v36, s[2:3] offset:2280
	v_lshlrev_b32_e32 v37, 4, v63
	global_load_b128 v[68:71], v37, s[2:3] offset:2280
	v_lshlrev_b32_e32 v36, 4, v62
	v_lshlrev_b32_e32 v37, 4, v61
	global_load_b128 v[64:67], v36, s[2:3] offset:2280
	s_wait_loadcnt_dscnt 0x205
	v_dual_mul_f32 v173, v88, v75 :: v_dual_lshlrev_b32 v36, 4, v60
	s_clause 0x1
	global_load_b128 v[60:63], v37, s[2:3] offset:2280
	global_load_b128 v[56:59], v36, s[2:3] offset:2280
	v_add_co_u32 v36, s1, 0xffffffee, v154
	s_wait_alu 0xf1ff
	v_add_co_ci_u32_e64 v37, null, 0, -1, s1
	s_wait_loadcnt_dscnt 0x304
	v_dual_mul_f32 v172, v89, v75 :: v_dual_mul_f32 v175, v92, v69
	s_delay_alu instid0(VALU_DEP_2) | instskip(SKIP_3) | instid1(VALU_DEP_4)
	v_dual_cndmask_b32 v36, v36, v167 :: v_dual_cndmask_b32 v37, v37, v168
	v_mul_f32_e32 v167, v79, v73
	v_mul_f32_e32 v168, v78, v73
	v_dual_mul_f32 v174, v93, v69 :: v_dual_mul_f32 v177, v90, v71
	v_lshlrev_b64_e32 v[36:37], 4, v[36:37]
	s_wait_loadcnt 0x2
	v_dual_mul_f32 v176, v91, v71 :: v_dual_mul_f32 v179, v94, v65
	s_wait_dscnt 0x2
	v_dual_mul_f32 v178, v95, v65 :: v_dual_mul_f32 v181, v96, v67
	v_mul_f32_e32 v180, v97, v67
	v_add_co_u32 v36, s1, s2, v36
	s_wait_alu 0xf1ff
	v_add_co_ci_u32_e64 v37, s1, s3, v37, s1
	v_fma_f32 v78, v78, v72, -v167
	v_dual_fmac_f32 v168, v79, v72 :: v_dual_fmac_f32 v181, v97, v66
	global_load_b128 v[36:39], v[36:37], off offset:2280
	v_fma_f32 v79, v88, v74, -v172
	v_fma_f32 v88, v92, v68, -v174
	v_fmac_f32_e32 v175, v93, v68
	v_fmac_f32_e32 v173, v89, v74
	v_fma_f32 v89, v90, v70, -v176
	v_fmac_f32_e32 v177, v91, v70
	v_fma_f32 v90, v94, v64, -v178
	v_fmac_f32_e32 v179, v95, v64
	s_delay_alu instid0(VALU_DEP_2)
	v_dual_add_f32 v97, v78, v79 :: v_dual_add_f32 v172, v80, v90
	s_wait_loadcnt_dscnt 0x101
	v_dual_mul_f32 v184, v99, v63 :: v_dual_mul_f32 v187, v102, v57
	s_wait_dscnt 0x0
	v_dual_mul_f32 v186, v103, v57 :: v_dual_mul_f32 v189, v110, v59
	v_dual_mul_f32 v182, v101, v61 :: v_dual_mul_f32 v185, v98, v63
	;; [unrolled: 1-line block ×3, first 2 shown]
	v_fma_f32 v91, v96, v66, -v180
	v_fmac_f32_e32 v187, v103, v56
	v_fmac_f32_e32 v189, v111, v58
	v_fma_f32 v92, v100, v60, -v182
	v_fma_f32 v93, v98, v62, -v184
	v_dual_add_f32 v174, v90, v91 :: v_dual_fmac_f32 v185, v99, v62
	v_fma_f32 v94, v102, v56, -v186
	v_add_f32_e32 v102, v86, v88
	v_fma_f32 v95, v110, v58, -v188
	v_add_f32_e32 v96, v84, v78
	v_dual_sub_f32 v98, v168, v173 :: v_dual_fmac_f32 v183, v101, v60
	v_sub_f32_e32 v110, v175, v177
	v_dual_add_f32 v100, v168, v173 :: v_dual_add_f32 v99, v85, v168
	v_add_f32_e32 v178, v179, v181
	v_dual_add_f32 v103, v88, v89 :: v_dual_add_f32 v176, v81, v179
	v_dual_add_f32 v111, v87, v175 :: v_dual_add_f32 v180, v82, v92
	v_sub_f32_e32 v168, v88, v89
	v_dual_sub_f32 v192, v187, v189 :: v_dual_add_f32 v193, v77, v187
	v_add_f32_e32 v187, v187, v189
	v_dual_add_f32 v167, v175, v177 :: v_dual_add_f32 v190, v76, v94
	v_dual_sub_f32 v101, v78, v79 :: v_dual_add_f32 v182, v92, v93
	v_dual_sub_f32 v175, v179, v181 :: v_dual_sub_f32 v194, v94, v95
	v_dual_sub_f32 v179, v90, v91 :: v_dual_sub_f32 v184, v183, v185
	v_add_f32_e32 v186, v83, v183
	v_dual_add_f32 v183, v183, v185 :: v_dual_add_f32 v78, v96, v79
	v_dual_sub_f32 v188, v92, v93 :: v_dual_add_f32 v191, v94, v95
	v_fma_f32 v84, -0.5, v97, v84
	v_dual_add_f32 v79, v99, v173 :: v_dual_add_f32 v94, v190, v95
	v_fma_f32 v85, -0.5, v100, v85
	v_dual_add_f32 v88, v102, v89 :: v_dual_fmac_f32 v87, -0.5, v167
	v_fma_f32 v86, -0.5, v103, v86
	v_dual_add_f32 v89, v111, v177 :: v_dual_add_f32 v90, v172, v91
	v_fma_f32 v81, -0.5, v178, v81
	s_wait_loadcnt 0x0
	v_dual_fmac_f32 v77, -0.5, v187 :: v_dual_mul_f32 v172, v104, v37
	v_mul_f32_e32 v111, v105, v37
	v_mul_f32_e32 v173, v107, v39
	v_fma_f32 v80, -0.5, v174, v80
	v_add_f32_e32 v91, v176, v181
	v_dual_add_f32 v92, v180, v93 :: v_dual_fmac_f32 v83, -0.5, v183
	v_fma_f32 v82, -0.5, v182, v82
	v_add_f32_e32 v93, v186, v185
	v_fma_f32 v76, -0.5, v191, v76
	v_dual_add_f32 v95, v193, v189 :: v_dual_fmamk_f32 v96, v98, 0x3f5db3d7, v84
	v_mul_f32_e32 v174, v106, v39
	v_dual_fmac_f32 v84, 0xbf5db3d7, v98 :: v_dual_fmamk_f32 v97, v101, 0xbf5db3d7, v85
	v_dual_fmac_f32 v85, 0x3f5db3d7, v101 :: v_dual_fmamk_f32 v100, v175, 0x3f5db3d7, v80
	v_fmamk_f32 v98, v110, 0x3f5db3d7, v86
	v_dual_fmac_f32 v86, 0xbf5db3d7, v110 :: v_dual_fmamk_f32 v101, v179, 0xbf5db3d7, v81
	v_dual_fmac_f32 v81, 0x3f5db3d7, v179 :: v_dual_fmac_f32 v172, v105, v36
	v_fma_f32 v104, v104, v36, -v111
	v_fma_f32 v105, v106, v38, -v173
	v_fmamk_f32 v99, v168, 0xbf5db3d7, v87
	v_dual_fmac_f32 v87, 0x3f5db3d7, v168 :: v_dual_fmamk_f32 v102, v184, 0x3f5db3d7, v82
	v_fmac_f32_e32 v80, 0xbf5db3d7, v175
	v_dual_fmac_f32 v82, 0xbf5db3d7, v184 :: v_dual_fmamk_f32 v103, v188, 0xbf5db3d7, v83
	v_dual_fmac_f32 v174, v107, v38 :: v_dual_fmac_f32 v83, 0x3f5db3d7, v188
	v_fmamk_f32 v167, v192, 0x3f5db3d7, v76
	v_fmac_f32_e32 v76, 0xbf5db3d7, v192
	ds_store_b64 v153, v[96:97] offset:2304
	ds_store_b64 v153, v[84:85] offset:4608
	ds_store_2addr_b64 v153, v[78:79], v[88:89] offset1:54
	ds_store_2addr_b64 v169, v[98:99], v[100:101] offset0:86 offset1:140
	v_add_f32_e32 v88, v109, v172
	v_add_f32_e32 v78, v104, v105
	v_dual_fmamk_f32 v168, v194, 0xbf5db3d7, v77 :: v_dual_add_f32 v79, v108, v104
	v_sub_f32_e32 v89, v104, v105
	v_add_f32_e32 v84, v172, v174
	s_delay_alu instid0(VALU_DEP_4) | instskip(SKIP_2) | instid1(VALU_DEP_4)
	v_fmac_f32_e32 v108, -0.5, v78
	v_sub_f32_e32 v85, v172, v174
	v_dual_fmac_f32 v77, 0x3f5db3d7, v194 :: v_dual_add_f32 v78, v79, v105
	v_fmac_f32_e32 v109, -0.5, v84
	s_delay_alu instid0(VALU_DEP_3)
	v_dual_add_f32 v79, v88, v174 :: v_dual_fmamk_f32 v110, v85, 0x3f5db3d7, v108
	v_fmac_f32_e32 v108, 0xbf5db3d7, v85
	ds_store_2addr_b64 v171, v[86:87], v[80:81] offset0:118 offset1:172
	ds_store_2addr_b64 v153, v[90:91], v[92:93] offset0:108 offset1:162
	ds_store_b64 v153, v[94:95] offset:1728
	ds_store_2addr_b64 v169, v[102:103], v[167:168] offset0:194 offset1:248
	ds_store_2addr_b64 v170, v[82:83], v[76:77] offset0:98 offset1:152
	v_fmamk_f32 v111, v89, 0xbf5db3d7, v109
	v_fmac_f32_e32 v109, 0x3f5db3d7, v89
	s_and_saveexec_b32 s1, vcc_lo
	s_cbranch_execz .LBB0_15
; %bb.14:
	ds_store_b64 v153, v[78:79] offset:2160
	ds_store_b64 v153, v[110:111] offset:4464
	;; [unrolled: 1-line block ×3, first 2 shown]
.LBB0_15:
	s_wait_alu 0xfffe
	s_or_b32 exec_lo, exec_lo, s1
	global_wb scope:SCOPE_SE
	s_wait_dscnt 0x0
	s_barrier_signal -1
	s_barrier_wait -1
	global_inv scope:SCOPE_SE
	global_load_b64 v[84:85], v[112:113], off offset:6912
	v_lshlrev_b32_e32 v76, 3, v154
	s_add_nc_u64 s[2:3], s[16:17], 0x1b00
	s_clause 0xd
	global_load_b64 v[167:168], v76, s[2:3] offset:432
	global_load_b64 v[169:170], v76, s[2:3] offset:6336
	;; [unrolled: 1-line block ×14, first 2 shown]
	ds_load_2addr_b64 v[80:83], v153 offset1:54
	ds_load_b64 v[195:196], v153 offset:6336
	s_wait_loadcnt_dscnt 0xd01
	v_dual_mul_f32 v198, v82, v168 :: v_dual_add_nc_u32 v199, 0xc00, v153
	s_wait_loadcnt_dscnt 0xc00
	v_dual_mul_f32 v104, v83, v168 :: v_dual_mul_f32 v201, v196, v170
	s_delay_alu instid0(VALU_DEP_1) | instskip(SKIP_2) | instid1(VALU_DEP_2)
	v_fma_f32 v197, v82, v167, -v104
	v_mul_f32_e32 v77, v81, v85
	v_mul_f32_e32 v86, v80, v85
	v_fma_f32 v85, v80, v84, -v77
	s_delay_alu instid0(VALU_DEP_2)
	v_dual_fmac_f32 v86, v81, v84 :: v_dual_add_nc_u32 v81, 0x400, v153
	v_add_nc_u32_e32 v80, 0x1000, v153
	v_add_nc_u32_e32 v77, 0x800, v153
	ds_store_b64 v153, v[85:86]
	ds_load_2addr_b64 v[84:87], v81 offset0:88 offset1:160
	ds_load_2addr_b64 v[88:91], v80 offset0:64 offset1:118
	;; [unrolled: 1-line block ×6, first 2 shown]
	v_mul_f32_e32 v168, v195, v170
	v_add_nc_u32_e32 v200, 0x1400, v153
	v_fmac_f32_e32 v198, v83, v167
	v_fma_f32 v167, v195, v169, -v201
	s_wait_loadcnt_dscnt 0xb05
	v_mul_f32_e32 v82, v87, v172
	v_mul_f32_e32 v83, v86, v172
	s_wait_loadcnt_dscnt 0x903
	v_mul_f32_e32 v195, v93, v176
	s_wait_loadcnt_dscnt 0x702
	v_mul_f32_e32 v201, v97, v180
	v_mul_f32_e32 v172, v92, v176
	v_dual_mul_f32 v176, v96, v180 :: v_dual_fmac_f32 v83, v87, v171
	s_wait_loadcnt_dscnt 0x501
	v_dual_fmac_f32 v168, v196, v169 :: v_dual_mul_f32 v203, v101, v184
	v_mul_f32_e32 v169, v89, v174
	s_wait_loadcnt_dscnt 0x300
	v_dual_mul_f32 v170, v88, v174 :: v_dual_mul_f32 v205, v105, v188
	s_wait_loadcnt 0x1
	v_dual_mul_f32 v196, v91, v178 :: v_dual_mul_f32 v207, v85, v192
	v_mul_f32_e32 v174, v90, v178
	v_mul_f32_e32 v180, v100, v184
	;; [unrolled: 1-line block ×10, first 2 shown]
	s_wait_loadcnt 0x0
	v_mul_f32_e32 v192, v107, v194
	v_mul_f32_e32 v190, v106, v194
	v_fma_f32 v82, v86, v171, -v82
	v_fma_f32 v171, v92, v175, -v195
	v_fmac_f32_e32 v172, v93, v175
	v_fma_f32 v175, v96, v179, -v201
	v_fmac_f32_e32 v176, v97, v179
	;; [unrolled: 2-line block ×11, first 2 shown]
	ds_store_2addr_b64 v77, v[82:83], v[171:172] offset0:32 offset1:86
	ds_store_2addr_b64 v153, v[197:198], v[175:176] offset0:54 offset1:108
	;; [unrolled: 1-line block ×7, first 2 shown]
	s_and_saveexec_b32 s1, vcc_lo
	s_cbranch_execz .LBB0_17
; %bb.16:
	s_wait_alu 0xfffe
	v_add_co_u32 v82, s2, s2, v76
	s_wait_alu 0xf1ff
	v_add_co_ci_u32_e64 v83, null, s3, 0, s2
	s_clause 0x2
	global_load_b64 v[84:85], v[82:83], off offset:2160
	global_load_b64 v[86:87], v[82:83], off offset:4464
	;; [unrolled: 1-line block ×3, first 2 shown]
	ds_load_b64 v[88:89], v153 offset:2160
	ds_load_b64 v[90:91], v153 offset:4464
	;; [unrolled: 1-line block ×3, first 2 shown]
	s_wait_loadcnt_dscnt 0x202
	v_mul_f32_e32 v76, v89, v85
	s_wait_loadcnt_dscnt 0x101
	v_dual_mul_f32 v95, v88, v85 :: v_dual_mul_f32 v96, v91, v87
	v_mul_f32_e32 v85, v90, v87
	s_wait_loadcnt_dscnt 0x0
	v_mul_f32_e32 v97, v93, v83
	v_mul_f32_e32 v87, v92, v83
	v_fma_f32 v94, v88, v84, -v76
	v_fmac_f32_e32 v95, v89, v84
	v_fma_f32 v84, v90, v86, -v96
	v_fmac_f32_e32 v85, v91, v86
	;; [unrolled: 2-line block ×3, first 2 shown]
	ds_store_b64 v153, v[94:95] offset:2160
	ds_store_b64 v153, v[84:85] offset:4464
	;; [unrolled: 1-line block ×3, first 2 shown]
.LBB0_17:
	s_wait_alu 0xfffe
	s_or_b32 exec_lo, exec_lo, s1
	global_wb scope:SCOPE_SE
	s_wait_dscnt 0x0
	s_barrier_signal -1
	s_barrier_wait -1
	global_inv scope:SCOPE_SE
	ds_load_2addr_b64 v[92:95], v153 offset1:54
	ds_load_2addr_b64 v[84:87], v81 offset0:88 offset1:160
	ds_load_2addr_b64 v[104:107], v80 offset0:64 offset1:118
	;; [unrolled: 1-line block ×6, first 2 shown]
	ds_load_b64 v[76:77], v153 offset:6336
	s_and_saveexec_b32 s1, vcc_lo
	s_cbranch_execz .LBB0_19
; %bb.18:
	ds_load_b64 v[78:79], v153 offset:2160
	ds_load_b64 v[110:111], v153 offset:4464
	;; [unrolled: 1-line block ×3, first 2 shown]
.LBB0_19:
	s_wait_alu 0xfffe
	s_or_b32 exec_lo, exec_lo, s1
	s_wait_dscnt 0x5
	v_dual_add_f32 v167, v86, v104 :: v_dual_add_f32 v168, v92, v86
	v_dual_sub_f32 v169, v87, v105 :: v_dual_sub_f32 v86, v86, v104
	v_dual_add_f32 v170, v87, v105 :: v_dual_add_f32 v87, v93, v87
	s_delay_alu instid0(VALU_DEP_3) | instskip(NEXT) | instid1(VALU_DEP_4)
	v_fma_f32 v92, -0.5, v167, v92
	v_add_f32_e32 v104, v168, v104
	global_wb scope:SCOPE_SE
	s_wait_dscnt 0x0
	v_fma_f32 v93, -0.5, v170, v93
	v_add_f32_e32 v105, v87, v105
	v_fmamk_f32 v167, v169, 0xbf5db3d7, v92
	v_dual_fmac_f32 v92, 0x3f5db3d7, v169 :: v_dual_add_f32 v87, v100, v106
	s_delay_alu instid0(VALU_DEP_4)
	v_fmamk_f32 v168, v86, 0x3f5db3d7, v93
	v_add_f32_e32 v169, v94, v100
	s_barrier_signal -1
	s_barrier_wait -1
	v_fma_f32 v94, -0.5, v87, v94
	v_sub_f32_e32 v87, v101, v107
	v_dual_fmac_f32 v93, 0xbf5db3d7, v86 :: v_dual_add_f32 v86, v101, v107
	v_add_f32_e32 v101, v95, v101
	global_inv scope:SCOPE_SE
	v_fmac_f32_e32 v95, -0.5, v86
	v_sub_f32_e32 v86, v100, v106
	v_dual_add_f32 v169, v169, v106 :: v_dual_fmamk_f32 v100, v87, 0xbf5db3d7, v94
	v_dual_fmac_f32 v94, 0x3f5db3d7, v87 :: v_dual_add_f32 v87, v102, v96
	v_add_f32_e32 v106, v88, v102
	s_delay_alu instid0(VALU_DEP_4) | instskip(SKIP_1) | instid1(VALU_DEP_3)
	v_dual_add_f32 v170, v101, v107 :: v_dual_fmamk_f32 v101, v86, 0x3f5db3d7, v95
	v_dual_fmac_f32 v95, 0xbf5db3d7, v86 :: v_dual_add_f32 v86, v103, v97
	v_add_f32_e32 v106, v106, v96
	v_fma_f32 v88, -0.5, v87, v88
	v_sub_f32_e32 v87, v103, v97
	v_add_f32_e32 v103, v89, v103
	v_fma_f32 v89, -0.5, v86, v89
	v_sub_f32_e32 v86, v102, v96
	v_add_f32_e32 v102, v90, v80
	v_fmamk_f32 v96, v87, 0xbf5db3d7, v88
	v_dual_fmac_f32 v88, 0x3f5db3d7, v87 :: v_dual_add_f32 v107, v103, v97
	v_add_f32_e32 v87, v80, v98
	v_dual_fmamk_f32 v97, v86, 0x3f5db3d7, v89 :: v_dual_sub_f32 v80, v80, v98
	v_dual_fmac_f32 v89, 0xbf5db3d7, v86 :: v_dual_add_f32 v86, v81, v99
	s_delay_alu instid0(VALU_DEP_3) | instskip(SKIP_2) | instid1(VALU_DEP_4)
	v_fma_f32 v90, -0.5, v87, v90
	v_dual_sub_f32 v87, v81, v99 :: v_dual_add_f32 v102, v102, v98
	v_add_f32_e32 v81, v91, v81
	v_fmac_f32_e32 v91, -0.5, v86
	v_add_f32_e32 v86, v84, v82
	s_delay_alu instid0(VALU_DEP_4)
	v_fmamk_f32 v98, v87, 0xbf5db3d7, v90
	v_fmac_f32_e32 v90, 0x3f5db3d7, v87
	v_add_f32_e32 v103, v81, v99
	v_add_f32_e32 v81, v82, v76
	v_add_f32_e32 v87, v83, v77
	v_fmamk_f32 v99, v80, 0x3f5db3d7, v91
	s_delay_alu instid0(VALU_DEP_3)
	v_fma_f32 v84, -0.5, v81, v84
	v_sub_f32_e32 v81, v83, v77
	v_add_f32_e32 v83, v85, v83
	v_fmac_f32_e32 v91, 0xbf5db3d7, v80
	v_add_f32_e32 v80, v86, v76
	v_sub_f32_e32 v76, v82, v76
	v_fmamk_f32 v82, v81, 0xbf5db3d7, v84
	v_fmac_f32_e32 v84, 0x3f5db3d7, v81
	v_dual_add_f32 v86, v78, v110 :: v_dual_add_f32 v81, v83, v77
	v_add_f32_e32 v77, v110, v108
	v_fmac_f32_e32 v85, -0.5, v87
	v_dual_add_f32 v87, v79, v111 :: v_dual_sub_f32 v110, v110, v108
	s_delay_alu instid0(VALU_DEP_4) | instskip(NEXT) | instid1(VALU_DEP_4)
	v_add_f32_e32 v86, v86, v108
	v_fmac_f32_e32 v78, -0.5, v77
	v_sub_f32_e32 v77, v111, v109
	v_fmamk_f32 v83, v76, 0x3f5db3d7, v85
	v_dual_fmac_f32 v85, 0xbf5db3d7, v76 :: v_dual_add_f32 v76, v111, v109
	v_add_f32_e32 v87, v87, v109
	s_delay_alu instid0(VALU_DEP_2)
	v_dual_fmac_f32 v79, -0.5, v76 :: v_dual_fmamk_f32 v76, v77, 0xbf5db3d7, v78
	v_fmac_f32_e32 v78, 0x3f5db3d7, v77
	ds_store_2addr_b64 v161, v[104:105], v[167:168] offset1:1
	ds_store_b64 v161, v[92:93] offset:16
	ds_store_2addr_b64 v160, v[169:170], v[100:101] offset1:1
	ds_store_b64 v160, v[94:95] offset:16
	ds_store_2addr_b64 v165, v[106:107], v[96:97] offset1:1
	ds_store_b64 v165, v[88:89] offset:16
	ds_store_2addr_b64 v164, v[102:103], v[98:99] offset1:1
	ds_store_b64 v164, v[90:91] offset:16
	ds_store_2addr_b64 v162, v[80:81], v[82:83] offset1:1
	ds_store_b64 v162, v[84:85] offset:16
	v_fmamk_f32 v77, v110, 0x3f5db3d7, v79
	v_fmac_f32_e32 v79, 0xbf5db3d7, v110
	s_and_saveexec_b32 s1, vcc_lo
	s_cbranch_execz .LBB0_21
; %bb.20:
	v_lshlrev_b32_e32 v88, 3, v163
	ds_store_2addr_b64 v88, v[86:87], v[76:77] offset1:1
	ds_store_b64 v88, v[78:79] offset:16
.LBB0_21:
	s_wait_alu 0xfffe
	s_or_b32 exec_lo, exec_lo, s1
	v_add_nc_u32_e32 v92, 0x800, v153
	v_add_nc_u32_e32 v93, 0x1000, v153
	;; [unrolled: 1-line block ×3, first 2 shown]
	global_wb scope:SCOPE_SE
	s_wait_dscnt 0x0
	s_barrier_signal -1
	s_barrier_wait -1
	global_inv scope:SCOPE_SE
	ds_load_2addr_b64 v[88:91], v153 offset1:54
	ds_load_2addr_b64 v[108:111], v153 offset0:144 offset1:198
	ds_load_2addr_b64 v[104:107], v92 offset0:32 offset1:86
	;; [unrolled: 1-line block ×5, first 2 shown]
	s_and_saveexec_b32 s1, s0
	s_cbranch_execz .LBB0_23
; %bb.22:
	v_add_nc_u32_e32 v80, 0xc00, v153
	ds_load_2addr_b64 v[76:79], v160 offset0:44 offset1:188
	ds_load_2addr_b64 v[84:87], v80 offset0:12 offset1:156
	;; [unrolled: 1-line block ×3, first 2 shown]
.LBB0_23:
	s_wait_alu 0xfffe
	s_or_b32 exec_lo, exec_lo, s1
	s_wait_dscnt 0x4
	v_mul_f32_e32 v160, v21, v109
	s_wait_dscnt 0x3
	v_mul_f32_e32 v161, v23, v105
	v_mul_f32_e32 v23, v23, v104
	;; [unrolled: 1-line block ×3, first 2 shown]
	global_wb scope:SCOPE_SE
	s_wait_dscnt 0x0
	v_fmac_f32_e32 v160, v20, v108
	v_fmac_f32_e32 v161, v22, v104
	v_fma_f32 v22, v22, v105, -v23
	v_mul_f32_e32 v23, v19, v97
	v_fma_f32 v20, v20, v109, -v21
	v_mul_f32_e32 v21, v17, v101
	v_mul_f32_e32 v17, v17, v100
	v_mul_f32_e32 v19, v19, v96
	v_fmac_f32_e32 v23, v18, v96
	v_mul_f32_e32 v96, v150, v92
	s_barrier_signal -1
	s_barrier_wait -1
	v_fma_f32 v18, v18, v97, -v19
	v_mul_f32_e32 v97, v13, v111
	v_fma_f32 v19, v149, v93, -v96
	v_mul_f32_e32 v96, v148, v95
	v_fmac_f32_e32 v21, v16, v100
	v_fma_f32 v16, v16, v101, -v17
	v_mul_f32_e32 v17, v150, v93
	v_mul_f32_e32 v13, v13, v110
	v_fmac_f32_e32 v96, v147, v94
	v_fmac_f32_e32 v97, v12, v110
	global_inv scope:SCOPE_SE
	v_dual_fmac_f32 v17, v149, v92 :: v_dual_mul_f32 v92, v15, v107
	v_mul_f32_e32 v15, v15, v106
	v_fma_f32 v12, v12, v111, -v13
	v_mul_f32_e32 v13, v9, v103
	v_mul_f32_e32 v9, v9, v102
	v_fmac_f32_e32 v92, v14, v106
	v_fma_f32 v14, v14, v107, -v15
	v_mul_f32_e32 v15, v11, v99
	v_mul_f32_e32 v11, v11, v98
	v_fmac_f32_e32 v13, v8, v102
	v_fma_f32 v93, v8, v103, -v9
	v_mul_f32_e32 v9, v148, v94
	v_fmac_f32_e32 v15, v10, v98
	v_fma_f32 v10, v10, v99, -v11
	v_mul_f32_e32 v8, v5, v83
	v_mul_f32_e32 v11, v5, v82
	v_fma_f32 v94, v147, v95, -v9
	v_mul_f32_e32 v5, v7, v85
	s_delay_alu instid0(VALU_DEP_4) | instskip(NEXT) | instid1(VALU_DEP_4)
	v_dual_mul_f32 v9, v7, v84 :: v_dual_fmac_f32 v8, v4, v82
	v_fma_f32 v7, v4, v83, -v11
	v_mul_f32_e32 v4, v1, v87
	v_mul_f32_e32 v11, v1, v86
	;; [unrolled: 1-line block ×3, first 2 shown]
	v_fmac_f32_e32 v5, v6, v84
	v_fma_f32 v6, v6, v85, -v9
	v_dual_fmac_f32 v4, v0, v86 :: v_dual_mul_f32 v9, v3, v76
	v_fma_f32 v3, v0, v87, -v11
	v_mul_f32_e32 v0, v146, v79
	v_dual_fmac_f32 v1, v2, v76 :: v_dual_add_f32 v76, v161, v23
	v_mul_f32_e32 v11, v146, v78
	v_fma_f32 v2, v2, v77, -v9
	s_delay_alu instid0(VALU_DEP_4) | instskip(SKIP_4) | instid1(VALU_DEP_3)
	v_fmac_f32_e32 v0, v145, v78
	v_sub_f32_e32 v78, v22, v18
	v_fma_f32 v76, -0.5, v76, v88
	v_fma_f32 v9, v145, v79, -v11
	v_add_f32_e32 v11, v22, v18
	v_dual_add_f32 v22, v89, v22 :: v_dual_fmamk_f32 v79, v78, 0xbf5db3d7, v76
	v_fmac_f32_e32 v76, 0x3f5db3d7, v78
	s_delay_alu instid0(VALU_DEP_2) | instskip(SKIP_3) | instid1(VALU_DEP_4)
	v_dual_add_f32 v78, v16, v19 :: v_dual_add_f32 v83, v22, v18
	v_add_f32_e32 v18, v21, v17
	v_add_f32_e32 v22, v20, v16
	v_sub_f32_e32 v16, v16, v19
	v_fmac_f32_e32 v20, -0.5, v78
	v_sub_f32_e32 v78, v21, v17
	v_dual_add_f32 v21, v160, v21 :: v_dual_fmac_f32 v160, -0.5, v18
	v_fma_f32 v11, -0.5, v11, v89
	v_add_f32_e32 v87, v22, v19
	s_delay_alu instid0(VALU_DEP_4) | instskip(NEXT) | instid1(VALU_DEP_4)
	v_fmamk_f32 v18, v78, 0x3f5db3d7, v20
	v_dual_fmac_f32 v20, 0xbf5db3d7, v78 :: v_dual_add_f32 v17, v21, v17
	v_fmamk_f32 v21, v16, 0xbf5db3d7, v160
	v_fmac_f32_e32 v160, 0x3f5db3d7, v16
	s_delay_alu instid0(VALU_DEP_4) | instskip(NEXT) | instid1(VALU_DEP_4)
	v_mul_f32_e32 v16, 0xbf5db3d7, v18
	v_mul_f32_e32 v78, 0xbf5db3d7, v20
	s_delay_alu instid0(VALU_DEP_2) | instskip(SKIP_1) | instid1(VALU_DEP_3)
	v_dual_mul_f32 v89, -0.5, v20 :: v_dual_fmac_f32 v16, 0.5, v21
	v_dual_add_f32 v77, v88, v161 :: v_dual_mul_f32 v88, 0.5, v18
	v_fmac_f32_e32 v78, -0.5, v160
	s_delay_alu instid0(VALU_DEP_3) | instskip(NEXT) | instid1(VALU_DEP_3)
	v_fmac_f32_e32 v89, 0x3f5db3d7, v160
	v_dual_add_f32 v20, v79, v16 :: v_dual_add_f32 v77, v77, v23
	s_delay_alu instid0(VALU_DEP_4) | instskip(NEXT) | instid1(VALU_DEP_4)
	v_dual_fmac_f32 v88, 0x3f5db3d7, v21 :: v_dual_sub_f32 v23, v161, v23
	v_add_f32_e32 v22, v76, v78
	v_sub_f32_e32 v86, v76, v78
	s_delay_alu instid0(VALU_DEP_4)
	v_sub_f32_e32 v82, v77, v17
	v_sub_f32_e32 v84, v79, v16
	v_dual_fmamk_f32 v85, v23, 0x3f5db3d7, v11 :: v_dual_add_f32 v16, v92, v15
	v_fmac_f32_e32 v11, 0xbf5db3d7, v23
	v_add_f32_e32 v19, v83, v87
	v_dual_sub_f32 v83, v83, v87 :: v_dual_sub_f32 v76, v14, v10
	s_delay_alu instid0(VALU_DEP_4) | instskip(NEXT) | instid1(VALU_DEP_4)
	v_fma_f32 v16, -0.5, v16, v90
	v_add_f32_e32 v23, v11, v89
	v_sub_f32_e32 v87, v11, v89
	v_add_f32_e32 v11, v91, v14
	v_add_f32_e32 v14, v14, v10
	v_dual_add_f32 v18, v77, v17 :: v_dual_fmamk_f32 v77, v76, 0xbf5db3d7, v16
	s_delay_alu instid0(VALU_DEP_3) | instskip(SKIP_3) | instid1(VALU_DEP_3)
	v_dual_fmac_f32 v16, 0x3f5db3d7, v76 :: v_dual_add_f32 v11, v11, v10
	v_add_f32_e32 v10, v93, v94
	v_dual_add_f32 v76, v12, v93 :: v_dual_add_f32 v17, v90, v92
	v_dual_fmac_f32 v91, -0.5, v14 :: v_dual_sub_f32 v14, v92, v15
	v_fmac_f32_e32 v12, -0.5, v10
	v_sub_f32_e32 v10, v13, v96
	s_delay_alu instid0(VALU_DEP_1) | instskip(SKIP_2) | instid1(VALU_DEP_2)
	v_dual_add_f32 v76, v76, v94 :: v_dual_fmamk_f32 v79, v10, 0x3f5db3d7, v12
	v_dual_fmac_f32 v12, 0xbf5db3d7, v10 :: v_dual_add_f32 v17, v17, v15
	v_add_f32_e32 v15, v13, v96
	v_dual_add_f32 v13, v97, v13 :: v_dual_mul_f32 v100, -0.5, v12
	s_delay_alu instid0(VALU_DEP_2) | instskip(SKIP_1) | instid1(VALU_DEP_1)
	v_fmac_f32_e32 v97, -0.5, v15
	v_sub_f32_e32 v15, v93, v94
	v_dual_add_f32 v10, v13, v96 :: v_dual_fmamk_f32 v13, v15, 0xbf5db3d7, v97
	s_delay_alu instid0(VALU_DEP_1) | instskip(SKIP_1) | instid1(VALU_DEP_1)
	v_dual_sub_f32 v96, v17, v10 :: v_dual_fmac_f32 v97, 0x3f5db3d7, v15
	v_dual_mul_f32 v15, 0xbf5db3d7, v12 :: v_dual_add_f32 v12, v1, v5
	v_fmac_f32_e32 v15, -0.5, v97
	s_delay_alu instid0(VALU_DEP_1)
	v_dual_add_f32 v94, v16, v15 :: v_dual_add_f32 v21, v85, v88
	v_dual_fmamk_f32 v78, v14, 0x3f5db3d7, v91 :: v_dual_sub_f32 v85, v85, v88
	v_dual_fmac_f32 v91, 0xbf5db3d7, v14 :: v_dual_mul_f32 v14, 0xbf5db3d7, v79
	v_add_f32_e32 v88, v17, v10
	v_sub_f32_e32 v90, v16, v15
	v_fma_f32 v10, -0.5, v12, v80
	s_delay_alu instid0(VALU_DEP_4) | instskip(SKIP_1) | instid1(VALU_DEP_2)
	v_dual_mul_f32 v79, 0.5, v79 :: v_dual_fmac_f32 v14, 0.5, v13
	v_dual_add_f32 v15, v4, v0 :: v_dual_add_f32 v12, v2, v6
	v_add_f32_e32 v92, v77, v14
	v_sub_f32_e32 v98, v77, v14
	v_add_f32_e32 v14, v3, v9
	v_fmac_f32_e32 v100, 0x3f5db3d7, v97
	v_fma_f32 v77, -0.5, v15, v8
	v_sub_f32_e32 v15, v3, v9
	v_fma_f32 v12, -0.5, v12, v81
	v_fma_f32 v17, -0.5, v14, v7
	v_sub_f32_e32 v14, v4, v0
	s_delay_alu instid0(VALU_DEP_1) | instskip(SKIP_1) | instid1(VALU_DEP_2)
	v_dual_add_f32 v89, v11, v76 :: v_dual_fmamk_f32 v16, v14, 0x3f5db3d7, v17
	v_fmac_f32_e32 v79, 0x3f5db3d7, v13
	v_dual_fmac_f32 v17, 0xbf5db3d7, v14 :: v_dual_mul_f32 v14, 0xbf5db3d7, v16
	s_delay_alu instid0(VALU_DEP_2)
	v_dual_mul_f32 v16, 0.5, v16 :: v_dual_add_f32 v93, v78, v79
	v_dual_sub_f32 v99, v78, v79 :: v_dual_fmamk_f32 v78, v15, 0xbf5db3d7, v77
	v_dual_sub_f32 v97, v11, v76 :: v_dual_sub_f32 v76, v5, v1
	v_sub_f32_e32 v13, v6, v2
	v_fmac_f32_e32 v77, 0x3f5db3d7, v15
	v_mul_f32_e32 v15, 0xbf5db3d7, v17
	v_mul_f32_e32 v17, -0.5, v17
	v_dual_add_f32 v95, v91, v100 :: v_dual_fmac_f32 v14, 0.5, v78
	s_delay_alu instid0(VALU_DEP_3)
	v_dual_fmac_f32 v16, 0x3f5db3d7, v78 :: v_dual_fmac_f32 v15, -0.5, v77
	v_fmamk_f32 v11, v13, 0xbf5db3d7, v10
	v_fmac_f32_e32 v10, 0x3f5db3d7, v13
	v_fmamk_f32 v13, v76, 0x3f5db3d7, v12
	v_fmac_f32_e32 v12, 0xbf5db3d7, v76
	v_fmac_f32_e32 v17, 0x3f5db3d7, v77
	s_delay_alu instid0(VALU_DEP_4) | instskip(NEXT) | instid1(VALU_DEP_4)
	v_dual_sub_f32 v91, v91, v100 :: v_dual_sub_f32 v78, v10, v15
	v_dual_sub_f32 v76, v11, v14 :: v_dual_sub_f32 v77, v13, v16
	s_delay_alu instid0(VALU_DEP_3)
	v_sub_f32_e32 v79, v12, v17
	ds_store_2addr_b64 v159, v[18:19], v[20:21] offset1:3
	ds_store_2addr_b64 v159, v[22:23], v[82:83] offset0:6 offset1:9
	ds_store_2addr_b64 v159, v[84:85], v[86:87] offset0:12 offset1:15
	ds_store_2addr_b64 v158, v[88:89], v[92:93] offset1:3
	ds_store_2addr_b64 v158, v[94:95], v[96:97] offset0:6 offset1:9
	ds_store_2addr_b64 v158, v[98:99], v[90:91] offset0:12 offset1:15
	s_and_saveexec_b32 s1, s0
	s_cbranch_execz .LBB0_25
; %bb.24:
	v_dual_add_f32 v6, v6, v81 :: v_dual_add_f32 v3, v3, v7
	v_add_f32_e32 v5, v5, v80
	v_add_f32_e32 v4, v4, v8
	s_delay_alu instid0(VALU_DEP_3) | instskip(NEXT) | instid1(VALU_DEP_3)
	v_dual_add_f32 v6, v2, v6 :: v_dual_add_f32 v7, v9, v3
	v_add_f32_e32 v8, v1, v5
	s_delay_alu instid0(VALU_DEP_3)
	v_add_f32_e32 v0, v0, v4
	v_mul_u32_u24_e32 v9, 18, v157
	v_dual_add_f32 v1, v12, v17 :: v_dual_add_f32 v4, v11, v14
	v_sub_f32_e32 v3, v6, v7
	v_add_f32_e32 v5, v13, v16
	v_dual_add_f32 v7, v6, v7 :: v_dual_sub_f32 v2, v8, v0
	v_add_f32_e32 v6, v8, v0
	v_add_f32_e32 v0, v10, v15
	v_add_lshl_u32 v8, v9, v156, 3
	ds_store_2addr_b64 v8, v[6:7], v[4:5] offset1:3
	ds_store_2addr_b64 v8, v[0:1], v[2:3] offset0:6 offset1:9
	ds_store_2addr_b64 v8, v[76:77], v[78:79] offset0:12 offset1:15
.LBB0_25:
	s_wait_alu 0xfffe
	s_or_b32 exec_lo, exec_lo, s1
	global_wb scope:SCOPE_SE
	s_wait_dscnt 0x0
	s_barrier_signal -1
	s_barrier_wait -1
	global_inv scope:SCOPE_SE
	ds_load_2addr_b64 v[0:3], v153 offset1:54
	ds_load_2addr_b64 v[4:7], v153 offset0:108 offset1:162
	v_add_nc_u32_e32 v91, 0x400, v153
	v_add_nc_u32_e32 v80, 0x800, v153
	;; [unrolled: 1-line block ×3, first 2 shown]
	s_wait_dscnt 0x1
	v_dual_mul_f32 v92, v53, v3 :: v_dual_add_nc_u32 v81, 0x1400, v153
	s_wait_dscnt 0x0
	v_mul_f32_e32 v94, v45, v7
	ds_load_2addr_b64 v[8:11], v91 offset0:88 offset1:142
	v_mul_f32_e32 v53, v53, v2
	v_dual_mul_f32 v93, v55, v5 :: v_dual_fmac_f32 v92, v52, v2
	v_mul_f32_e32 v55, v55, v4
	ds_load_2addr_b64 v[12:15], v80 offset0:68 offset1:122
	ds_load_2addr_b64 v[16:19], v80 offset0:176 offset1:230
	;; [unrolled: 1-line block ×5, first 2 shown]
	v_mul_f32_e32 v45, v45, v6
	v_dual_fmac_f32 v93, v54, v4 :: v_dual_fmac_f32 v94, v44, v6
	v_fma_f32 v2, v52, v3, -v53
	v_fma_f32 v3, v54, v5, -v55
	global_wb scope:SCOPE_SE
	s_wait_dscnt 0x0
	s_barrier_signal -1
	s_barrier_wait -1
	global_inv scope:SCOPE_SE
	v_mul_f32_e32 v4, v47, v9
	v_mul_f32_e32 v5, v47, v8
	v_fma_f32 v6, v44, v7, -v45
	v_mul_f32_e32 v7, v33, v11
	s_delay_alu instid0(VALU_DEP_4) | instskip(NEXT) | instid1(VALU_DEP_2)
	v_dual_mul_f32 v33, v33, v10 :: v_dual_fmac_f32 v4, v46, v8
	v_dual_mul_f32 v8, v35, v13 :: v_dual_fmac_f32 v7, v32, v10
	v_mul_f32_e32 v10, v35, v12
	s_delay_alu instid0(VALU_DEP_2)
	v_fmac_f32_e32 v8, v34, v12
	v_mul_f32_e32 v12, v25, v14
	v_fma_f32 v5, v46, v9, -v5
	v_fma_f32 v9, v32, v11, -v33
	v_mul_f32_e32 v11, v25, v15
	v_mul_f32_e32 v25, v27, v17
	v_fma_f32 v10, v34, v13, -v10
	v_mul_f32_e32 v13, v27, v16
	v_fma_f32 v12, v24, v15, -v12
	v_mul_f32_e32 v27, v152, v90
	v_dual_fmac_f32 v25, v26, v16 :: v_dual_mul_f32 v16, v51, v21
	v_dual_fmac_f32 v11, v24, v14 :: v_dual_mul_f32 v14, v49, v19
	v_dual_mul_f32 v15, v49, v18 :: v_dual_mul_f32 v24, v31, v88
	s_delay_alu instid0(VALU_DEP_3) | instskip(NEXT) | instid1(VALU_DEP_3)
	v_dual_fmac_f32 v16, v50, v20 :: v_dual_fmac_f32 v27, v151, v89
	v_fmac_f32_e32 v14, v48, v18
	v_fma_f32 v13, v26, v17, -v13
	v_dual_mul_f32 v18, v41, v23 :: v_dual_mul_f32 v17, v51, v20
	v_fma_f32 v15, v48, v19, -v15
	v_dual_mul_f32 v19, v41, v22 :: v_dual_mul_f32 v20, v43, v84
	s_delay_alu instid0(VALU_DEP_3) | instskip(NEXT) | instid1(VALU_DEP_4)
	v_fmac_f32_e32 v18, v40, v22
	v_fma_f32 v17, v50, v21, -v17
	v_dual_mul_f32 v21, v43, v83 :: v_dual_mul_f32 v22, v29, v86
	s_delay_alu instid0(VALU_DEP_4) | instskip(SKIP_1) | instid1(VALU_DEP_3)
	v_fma_f32 v19, v40, v23, -v19
	v_dual_fmac_f32 v20, v42, v83 :: v_dual_mul_f32 v23, v29, v85
	v_fma_f32 v21, v42, v84, -v21
	v_dual_mul_f32 v26, v31, v87 :: v_dual_sub_f32 v25, v0, v25
	v_fmac_f32_e32 v24, v30, v87
	s_delay_alu instid0(VALU_DEP_4) | instskip(SKIP_1) | instid1(VALU_DEP_4)
	v_fma_f32 v23, v28, v86, -v23
	v_dual_sub_f32 v13, v1, v13 :: v_dual_sub_f32 v20, v4, v20
	v_fma_f32 v26, v30, v88, -v26
	s_delay_alu instid0(VALU_DEP_4)
	v_dual_sub_f32 v21, v5, v21 :: v_dual_sub_f32 v24, v8, v24
	v_dual_sub_f32 v16, v93, v16 :: v_dual_sub_f32 v17, v3, v17
	v_dual_fmac_f32 v22, v28, v85 :: v_dual_sub_f32 v15, v2, v15
	v_dual_mul_f32 v28, v152, v89 :: v_dual_sub_f32 v23, v9, v23
	v_fma_f32 v0, v0, 2.0, -v25
	v_fma_f32 v4, v4, 2.0, -v20
	;; [unrolled: 1-line block ×3, first 2 shown]
	v_dual_sub_f32 v26, v10, v26 :: v_dual_sub_f32 v27, v11, v27
	v_fma_f32 v8, v8, 2.0, -v24
	v_sub_f32_e32 v18, v94, v18
	v_fma_f32 v28, v151, v90, -v28
	v_fma_f32 v1, v1, 2.0, -v13
	v_fma_f32 v5, v5, 2.0, -v21
	v_add_f32_e32 v21, v25, v21
	v_fma_f32 v3, v3, 2.0, -v17
	v_dual_sub_f32 v14, v92, v14 :: v_dual_sub_f32 v19, v6, v19
	v_fma_f32 v10, v10, 2.0, -v26
	v_dual_sub_f32 v22, v7, v22 :: v_dual_sub_f32 v5, v1, v5
	v_fma_f32 v2, v2, 2.0, -v15
	v_fma_f32 v9, v9, 2.0, -v23
	;; [unrolled: 1-line block ×4, first 2 shown]
	v_sub_f32_e32 v4, v0, v4
	v_sub_f32_e32 v8, v29, v8
	v_fma_f32 v30, v92, 2.0, -v14
	v_fma_f32 v7, v7, 2.0, -v22
	v_dual_sub_f32 v11, v31, v11 :: v_dual_sub_f32 v28, v12, v28
	s_delay_alu instid0(VALU_DEP_4) | instskip(SKIP_1) | instid1(VALU_DEP_4)
	v_fma_f32 v29, v29, 2.0, -v8
	v_sub_f32_e32 v9, v2, v9
	v_sub_f32_e32 v7, v30, v7
	v_fma_f32 v0, v0, 2.0, -v4
	v_sub_f32_e32 v10, v3, v10
	v_fma_f32 v6, v6, 2.0, -v19
	v_fma_f32 v12, v12, 2.0, -v28
	v_dual_sub_f32 v20, v13, v20 :: v_dual_add_f32 v23, v14, v23
	v_fma_f32 v1, v1, 2.0, -v5
	v_dual_add_f32 v26, v16, v26 :: v_dual_sub_f32 v27, v19, v27
	v_dual_sub_f32 v24, v17, v24 :: v_dual_sub_f32 v29, v0, v29
	v_fma_f32 v3, v3, 2.0, -v10
	s_delay_alu instid0(VALU_DEP_3) | instskip(SKIP_1) | instid1(VALU_DEP_4)
	v_fmamk_f32 v35, v26, 0x3f3504f3, v21
	v_fma_f32 v13, v13, 2.0, -v20
	v_fma_f32 v17, v17, 2.0, -v24
	s_delay_alu instid0(VALU_DEP_4) | instskip(SKIP_3) | instid1(VALU_DEP_4)
	v_dual_sub_f32 v22, v15, v22 :: v_dual_sub_f32 v33, v1, v3
	v_sub_f32_e32 v12, v6, v12
	v_fma_f32 v25, v25, 2.0, -v21
	v_fma_f32 v16, v16, 2.0, -v26
	v_fmamk_f32 v47, v27, 0x3f3504f3, v22
	v_fma_f32 v30, v30, 2.0, -v7
	v_fma_f32 v2, v2, 2.0, -v9
	;; [unrolled: 1-line block ×4, first 2 shown]
	v_fmamk_f32 v34, v17, 0xbf3504f3, v13
	v_dual_fmamk_f32 v32, v16, 0xbf3504f3, v25 :: v_dual_sub_f32 v41, v5, v8
	s_delay_alu instid0(VALU_DEP_4) | instskip(NEXT) | instid1(VALU_DEP_3)
	v_sub_f32_e32 v31, v30, v31
	v_dual_sub_f32 v43, v2, v6 :: v_dual_fmac_f32 v34, 0xbf3504f3, v16
	s_delay_alu instid0(VALU_DEP_3)
	v_dual_fmac_f32 v32, 0x3f3504f3, v17 :: v_dual_fmac_f32 v35, 0x3f3504f3, v24
	v_fma_f32 v3, v19, 2.0, -v27
	v_fma_f32 v17, v0, 2.0, -v29
	;; [unrolled: 1-line block ×5, first 2 shown]
	v_add_f32_e32 v28, v18, v28
	v_fma_f32 v14, v14, 2.0, -v23
	v_dual_add_f32 v40, v4, v10 :: v_dual_add_f32 v45, v7, v12
	v_fmamk_f32 v42, v24, 0x3f3504f3, v20
	v_fma_f32 v13, v13, 2.0, -v34
	v_sub_f32_e32 v46, v9, v11
	v_dual_sub_f32 v0, v17, v0 :: v_dual_sub_f32 v1, v19, v1
	v_fma_f32 v18, v18, 2.0, -v28
	v_fma_f32 v15, v15, 2.0, -v22
	;; [unrolled: 1-line block ×7, first 2 shown]
	v_dual_sub_f32 v17, v33, v31 :: v_dual_fmac_f32 v42, 0xbf3504f3, v26
	v_dual_fmac_f32 v47, 0xbf3504f3, v28 :: v_dual_fmamk_f32 v26, v18, 0xbf3504f3, v14
	v_fmamk_f32 v44, v3, 0xbf3504f3, v15
	v_fmamk_f32 v30, v28, 0x3f3504f3, v23
	v_fma_f32 v11, v7, 2.0, -v45
	v_fmamk_f32 v7, v9, 0xbf3504f3, v25
	v_fmac_f32_e32 v26, 0x3f3504f3, v3
	v_fmac_f32_e32 v44, 0xbf3504f3, v18
	v_fmac_f32_e32 v30, 0x3f3504f3, v27
	v_fma_f32 v20, v20, 2.0, -v42
	v_fmac_f32_e32 v7, 0xbf3504f3, v11
	v_fma_f32 v8, v14, 2.0, -v26
	v_fma_f32 v6, v15, 2.0, -v44
	;; [unrolled: 1-line block ×5, first 2 shown]
	s_delay_alu instid0(VALU_DEP_4) | instskip(SKIP_2) | instid1(VALU_DEP_3)
	v_dual_fmamk_f32 v2, v8, 0xbf6c835e, v16 :: v_dual_fmamk_f32 v3, v6, 0xbf6c835e, v13
	v_dual_fmamk_f32 v23, v46, 0x3f3504f3, v41 :: v_dual_fmamk_f32 v22, v45, 0x3f3504f3, v40
	v_fmamk_f32 v28, v30, 0x3f6c835e, v35
	v_fmac_f32_e32 v2, 0x3ec3ef15, v6
	s_delay_alu instid0(VALU_DEP_3) | instskip(SKIP_2) | instid1(VALU_DEP_4)
	v_dual_fmamk_f32 v6, v11, 0xbf3504f3, v24 :: v_dual_fmac_f32 v23, 0xbf3504f3, v45
	v_fmac_f32_e32 v3, 0xbec3ef15, v8
	v_fmamk_f32 v8, v14, 0xbec3ef15, v21
	v_fma_f32 v10, v16, 2.0, -v2
	v_add_f32_e32 v16, v29, v43
	v_fmac_f32_e32 v6, 0x3f3504f3, v9
	v_fmamk_f32 v9, v12, 0xbec3ef15, v20
	v_fma_f32 v5, v19, 2.0, -v1
	v_fmamk_f32 v18, v26, 0x3ec3ef15, v32
	v_fmamk_f32 v19, v44, 0x3ec3ef15, v34
	v_fmac_f32_e32 v8, 0x3f6c835e, v12
	v_fmac_f32_e32 v9, 0xbf6c835e, v14
	;; [unrolled: 1-line block ×5, first 2 shown]
	v_fma_f32 v11, v13, 2.0, -v3
	v_fma_f32 v15, v20, 2.0, -v9
	;; [unrolled: 1-line block ×3, first 2 shown]
	v_fmamk_f32 v29, v47, 0x3f6c835e, v42
	v_fmac_f32_e32 v28, 0x3ec3ef15, v47
	v_fma_f32 v12, v24, 2.0, -v6
	v_fma_f32 v13, v25, 2.0, -v7
	;; [unrolled: 1-line block ×3, first 2 shown]
	v_fmac_f32_e32 v29, 0xbec3ef15, v30
	v_fma_f32 v26, v40, 2.0, -v22
	v_fma_f32 v27, v41, 2.0, -v23
	;; [unrolled: 1-line block ×7, first 2 shown]
	ds_store_2addr_b64 v166, v[4:5], v[10:11] offset1:18
	ds_store_2addr_b64 v166, v[12:13], v[14:15] offset0:36 offset1:54
	ds_store_2addr_b64 v166, v[20:21], v[24:25] offset0:72 offset1:90
	v_add_nc_u32_e32 v4, 0x400, v166
	ds_store_2addr_b64 v166, v[26:27], v[30:31] offset0:108 offset1:126
	ds_store_2addr_b64 v166, v[0:1], v[2:3] offset0:144 offset1:162
	;; [unrolled: 1-line block ×5, first 2 shown]
	global_wb scope:SCOPE_SE
	s_wait_dscnt 0x0
	s_barrier_signal -1
	s_barrier_wait -1
	global_inv scope:SCOPE_SE
	ds_load_2addr_b64 v[8:11], v153 offset1:54
	ds_load_2addr_b64 v[0:3], v91 offset0:88 offset1:160
	ds_load_2addr_b64 v[24:27], v82 offset0:64 offset1:118
	;; [unrolled: 1-line block ×6, first 2 shown]
	ds_load_b64 v[30:31], v153 offset:6336
	s_and_saveexec_b32 s0, vcc_lo
	s_cbranch_execz .LBB0_27
; %bb.26:
	ds_load_b64 v[28:29], v153 offset:2160
	ds_load_b64 v[76:77], v153 offset:4464
	;; [unrolled: 1-line block ×3, first 2 shown]
.LBB0_27:
	s_wait_alu 0xfffe
	s_or_b32 exec_lo, exec_lo, s0
	s_wait_dscnt 0x5
	v_dual_mul_f32 v32, v73, v3 :: v_dual_mul_f32 v35, v75, v24
	v_dual_mul_f32 v33, v73, v2 :: v_dual_mul_f32 v34, v75, v25
	s_wait_dscnt 0x1
	v_mul_f32_e32 v42, v57, v15
	s_delay_alu instid0(VALU_DEP_3) | instskip(NEXT) | instid1(VALU_DEP_3)
	v_fmac_f32_e32 v32, v72, v2
	v_fma_f32 v3, v72, v3, -v33
	v_dual_mul_f32 v33, v69, v21 :: v_dual_fmac_f32 v34, v74, v24
	v_fma_f32 v24, v74, v25, -v35
	v_dual_mul_f32 v25, v71, v27 :: v_dual_mul_f32 v2, v69, v20
	s_delay_alu instid0(VALU_DEP_3) | instskip(SKIP_1) | instid1(VALU_DEP_3)
	v_dual_fmac_f32 v33, v68, v20 :: v_dual_mul_f32 v20, v71, v26
	v_mul_f32_e32 v35, v65, v23
	v_dual_fmac_f32 v25, v70, v26 :: v_dual_mul_f32 v26, v67, v17
	s_delay_alu instid0(VALU_DEP_4) | instskip(NEXT) | instid1(VALU_DEP_4)
	v_fma_f32 v21, v68, v21, -v2
	v_fma_f32 v20, v70, v27, -v20
	v_dual_mul_f32 v27, v61, v13 :: v_dual_mul_f32 v40, v63, v19
	s_delay_alu instid0(VALU_DEP_4) | instskip(SKIP_2) | instid1(VALU_DEP_3)
	v_fmac_f32_e32 v26, v66, v16
	v_mul_f32_e32 v2, v65, v22
	s_wait_dscnt 0x0
	v_dual_mul_f32 v44, v59, v31 :: v_dual_fmac_f32 v27, v60, v12
	v_dual_fmac_f32 v35, v64, v22 :: v_dual_mul_f32 v22, v67, v16
	s_delay_alu instid0(VALU_DEP_3)
	v_fma_f32 v23, v64, v23, -v2
	v_mul_f32_e32 v2, v61, v12
	v_mul_f32_e32 v12, v63, v18
	v_fmac_f32_e32 v42, v56, v14
	v_fma_f32 v22, v66, v17, -v22
	v_sub_f32_e32 v17, v21, v20
	v_fma_f32 v41, v60, v13, -v2
	v_dual_mul_f32 v2, v57, v14 :: v_dual_add_f32 v13, v8, v32
	v_sub_f32_e32 v14, v3, v24
	v_add_f32_e32 v16, v10, v33
	s_delay_alu instid0(VALU_DEP_3) | instskip(SKIP_1) | instid1(VALU_DEP_2)
	v_fma_f32 v45, v56, v15, -v2
	v_add_f32_e32 v2, v32, v34
	v_dual_sub_f32 v15, v32, v34 :: v_dual_add_f32 v32, v1, v45
	s_delay_alu instid0(VALU_DEP_2)
	v_fma_f32 v2, -0.5, v2, v8
	v_add_f32_e32 v8, v13, v34
	v_add_f32_e32 v13, v9, v3
	v_fma_f32 v43, v62, v19, -v12
	v_dual_mul_f32 v12, v59, v30 :: v_dual_sub_f32 v19, v33, v25
	v_fmac_f32_e32 v40, v62, v18
	s_delay_alu instid0(VALU_DEP_2) | instskip(SKIP_1) | instid1(VALU_DEP_1)
	v_fma_f32 v31, v58, v31, -v12
	v_add_f32_e32 v12, v3, v24
	v_fma_f32 v3, -0.5, v12, v9
	v_dual_fmamk_f32 v12, v14, 0xbf5db3d7, v2 :: v_dual_add_f32 v9, v13, v24
	v_sub_f32_e32 v24, v35, v26
	v_fmac_f32_e32 v2, 0x3f5db3d7, v14
	s_delay_alu instid0(VALU_DEP_4) | instskip(SKIP_3) | instid1(VALU_DEP_4)
	v_dual_add_f32 v14, v33, v25 :: v_dual_fmamk_f32 v13, v15, 0x3f5db3d7, v3
	v_fmac_f32_e32 v3, 0xbf5db3d7, v15
	v_dual_add_f32 v15, v21, v20 :: v_dual_add_f32 v18, v11, v21
	v_sub_f32_e32 v21, v23, v22
	v_fma_f32 v10, -0.5, v14, v10
	s_delay_alu instid0(VALU_DEP_3) | instskip(SKIP_1) | instid1(VALU_DEP_3)
	v_dual_add_f32 v14, v16, v25 :: v_dual_fmac_f32 v11, -0.5, v15
	v_fmac_f32_e32 v44, v58, v30
	v_dual_add_f32 v15, v18, v20 :: v_dual_fmamk_f32 v16, v17, 0xbf5db3d7, v10
	v_dual_fmac_f32 v10, 0x3f5db3d7, v17 :: v_dual_sub_f32 v25, v41, v43
	v_add_f32_e32 v18, v35, v26
	v_fmamk_f32 v17, v19, 0x3f5db3d7, v11
	v_fmac_f32_e32 v11, 0xbf5db3d7, v19
	v_add_f32_e32 v19, v23, v22
	v_add_f32_e32 v23, v5, v23
	;; [unrolled: 1-line block ×3, first 2 shown]
	v_fma_f32 v4, -0.5, v18, v4
	v_sub_f32_e32 v33, v42, v44
	v_fma_f32 v5, -0.5, v19, v5
	v_add_f32_e32 v19, v23, v22
	v_dual_add_f32 v22, v27, v40 :: v_dual_add_f32 v23, v6, v27
	v_add_f32_e32 v30, v0, v42
	s_delay_alu instid0(VALU_DEP_2) | instskip(NEXT) | instid1(VALU_DEP_3)
	v_fma_f32 v6, -0.5, v22, v6
	v_add_f32_e32 v22, v23, v40
	v_dual_add_f32 v23, v7, v41 :: v_dual_add_f32 v18, v20, v26
	v_sub_f32_e32 v26, v27, v40
	v_fmamk_f32 v20, v21, 0xbf5db3d7, v4
	v_dual_fmac_f32 v4, 0x3f5db3d7, v21 :: v_dual_fmamk_f32 v21, v24, 0x3f5db3d7, v5
	v_dual_fmac_f32 v5, 0xbf5db3d7, v24 :: v_dual_add_f32 v24, v41, v43
	v_add_f32_e32 v27, v42, v44
	v_add_f32_e32 v23, v23, v43
	s_delay_alu instid0(VALU_DEP_3) | instskip(SKIP_1) | instid1(VALU_DEP_4)
	v_dual_fmac_f32 v7, -0.5, v24 :: v_dual_fmamk_f32 v24, v25, 0xbf5db3d7, v6
	v_fmac_f32_e32 v6, 0x3f5db3d7, v25
	v_fma_f32 v0, -0.5, v27, v0
	v_sub_f32_e32 v27, v45, v31
	s_delay_alu instid0(VALU_DEP_4) | instskip(SKIP_1) | instid1(VALU_DEP_1)
	v_fmamk_f32 v25, v26, 0x3f5db3d7, v7
	v_dual_fmac_f32 v7, 0xbf5db3d7, v26 :: v_dual_add_f32 v26, v45, v31
	v_dual_fmac_f32 v1, -0.5, v26 :: v_dual_add_f32 v26, v30, v44
	s_delay_alu instid0(VALU_DEP_4) | instskip(SKIP_2) | instid1(VALU_DEP_4)
	v_fmamk_f32 v30, v27, 0xbf5db3d7, v0
	v_fmac_f32_e32 v0, 0x3f5db3d7, v27
	v_add_f32_e32 v27, v32, v31
	v_fmamk_f32 v31, v33, 0x3f5db3d7, v1
	v_fmac_f32_e32 v1, 0xbf5db3d7, v33
	ds_store_b64 v153, v[12:13] offset:2304
	ds_store_b64 v153, v[2:3] offset:4608
	ds_store_2addr_b64 v153, v[8:9], v[14:15] offset1:54
	ds_store_2addr_b64 v80, v[16:17], v[20:21] offset0:86 offset1:140
	ds_store_2addr_b64 v82, v[10:11], v[4:5] offset0:118 offset1:172
	;; [unrolled: 1-line block ×3, first 2 shown]
	ds_store_b64 v153, v[26:27] offset:1728
	ds_store_2addr_b64 v80, v[24:25], v[30:31] offset0:194 offset1:248
	ds_store_2addr_b64 v81, v[6:7], v[0:1] offset0:98 offset1:152
	s_and_saveexec_b32 s0, vcc_lo
	s_cbranch_execz .LBB0_29
; %bb.28:
	v_dual_mul_f32 v0, v37, v76 :: v_dual_mul_f32 v1, v39, v78
	s_delay_alu instid0(VALU_DEP_1) | instskip(SKIP_1) | instid1(VALU_DEP_3)
	v_fma_f32 v0, v36, v77, -v0
	v_mul_f32_e32 v4, v39, v79
	v_fma_f32 v3, v38, v79, -v1
	v_mul_f32_e32 v2, v37, v77
	s_delay_alu instid0(VALU_DEP_3) | instskip(NEXT) | instid1(VALU_DEP_3)
	v_dual_add_f32 v7, v29, v0 :: v_dual_fmac_f32 v4, v38, v78
	v_add_f32_e32 v1, v0, v3
	s_delay_alu instid0(VALU_DEP_3) | instskip(NEXT) | instid1(VALU_DEP_2)
	v_fmac_f32_e32 v2, v36, v76
	v_fma_f32 v1, -0.5, v1, v29
	v_sub_f32_e32 v8, v0, v3
	v_add_f32_e32 v3, v7, v3
	s_delay_alu instid0(VALU_DEP_4) | instskip(SKIP_2) | instid1(VALU_DEP_3)
	v_add_f32_e32 v5, v2, v4
	v_sub_f32_e32 v6, v2, v4
	v_add_f32_e32 v2, v28, v2
	v_fma_f32 v0, -0.5, v5, v28
	s_delay_alu instid0(VALU_DEP_3) | instskip(NEXT) | instid1(VALU_DEP_3)
	v_fmamk_f32 v5, v6, 0xbf5db3d7, v1
	v_dual_add_f32 v2, v2, v4 :: v_dual_fmac_f32 v1, 0x3f5db3d7, v6
	s_delay_alu instid0(VALU_DEP_3)
	v_fmamk_f32 v4, v8, 0x3f5db3d7, v0
	v_fmac_f32_e32 v0, 0xbf5db3d7, v8
	ds_store_b64 v153, v[2:3] offset:2160
	ds_store_b64 v153, v[0:1] offset:4464
	;; [unrolled: 1-line block ×3, first 2 shown]
.LBB0_29:
	s_wait_alu 0xfffe
	s_or_b32 exec_lo, exec_lo, s0
	global_wb scope:SCOPE_SE
	s_wait_dscnt 0x0
	s_barrier_signal -1
	s_barrier_wait -1
	global_inv scope:SCOPE_SE
	ds_load_2addr_b64 v[0:3], v153 offset1:54
	v_add_nc_u32_e32 v4, 0x400, v153
	v_add_nc_u32_e32 v17, 0x800, v153
	;; [unrolled: 1-line block ×3, first 2 shown]
	v_mad_co_u64_u32 v[36:37], null, s6, v114, 0
	v_mad_co_u64_u32 v[38:39], null, s4, v154, 0
	;; [unrolled: 1-line block ×3, first 2 shown]
	s_mov_b32 s10, 0xbda12f68
	s_mov_b32 s11, 0x3f52f684
	s_mul_u64 s[0:1], s[4:5], 0x120
	s_delay_alu instid0(VALU_DEP_2) | instskip(NEXT) | instid1(VALU_DEP_2)
	v_mad_co_u64_u32 v[42:43], null, s7, v114, v[37:38]
	v_mad_co_u64_u32 v[43:44], null, s5, v154, v[39:40]
	s_wait_alu 0xfffe
	s_lshl_b64 s[2:3], s[0:1], 3
	s_mul_i32 s1, s5, 0xfffff8b0
	s_wait_dscnt 0x0
	v_mul_f32_e32 v19, v142, v0
	ds_load_2addr_b64 v[4:7], v4 offset0:88 offset1:160
	ds_load_2addr_b64 v[8:11], v16 offset0:64 offset1:118
	v_mul_f32_e32 v24, v140, v3
	ds_load_2addr_b64 v[12:15], v17 offset0:86 offset1:140
	v_mul_f32_e32 v18, v142, v1
	v_dual_mul_f32 v20, v140, v2 :: v_dual_mov_b32 v39, v43
	v_fmac_f32_e32 v24, v139, v2
	s_delay_alu instid0(VALU_DEP_3) | instskip(SKIP_1) | instid1(VALU_DEP_1)
	v_fmac_f32_e32 v18, v141, v0
	v_fma_f32 v0, v141, v1, -v19
	v_cvt_f64_f32_e32 v[22:23], v0
	s_wait_dscnt 0x2
	v_mul_f32_e32 v1, v144, v7
	s_wait_dscnt 0x1
	v_mul_f32_e32 v25, v138, v8
	v_fma_f32 v2, v139, v3, -v20
	s_wait_dscnt 0x0
	v_mul_f32_e32 v45, v126, v13
	v_mul_f32_e32 v32, v138, v9
	;; [unrolled: 1-line block ×3, first 2 shown]
	v_fma_f32 v3, v137, v9, -v25
	v_mul_f32_e32 v19, v144, v6
	v_fmac_f32_e32 v45, v125, v12
	v_fmac_f32_e32 v32, v137, v8
	v_fma_f32 v37, v125, v13, -v46
	v_fmac_f32_e32 v1, v143, v6
	v_cvt_f64_f32_e32 v[20:21], v18
	v_cvt_f64_f32_e32 v[26:27], v2
	;; [unrolled: 1-line block ×4, first 2 shown]
	v_mov_b32_e32 v37, v42
	v_cvt_f64_f32_e32 v[32:33], v32
	v_fma_f32 v0, v143, v7, -v19
	v_cvt_f64_f32_e32 v[24:25], v24
	v_cvt_f64_f32_e32 v[28:29], v1
	v_mad_co_u64_u32 v[12:13], null, s5, v155, v[41:42]
	s_delay_alu instid0(VALU_DEP_4)
	v_cvt_f64_f32_e32 v[30:31], v0
	ds_load_2addr_b64 v[0:3], v153 offset0:108 offset1:162
	v_cvt_f64_f32_e32 v[44:45], v45
	v_mul_f32_e32 v42, v124, v11
	ds_load_2addr_b64 v[6:9], v16 offset0:172 offset1:226
	ds_load_2addr_b64 v[16:19], v17 offset0:194 offset1:248
	v_dual_mul_f32 v50, v122, v15 :: v_dual_mov_b32 v41, v12
	v_mul_f32_e32 v52, v120, v5
	v_fmac_f32_e32 v42, v123, v10
	v_mul_f64_e32 v[22:23], s[10:11], v[22:23]
	s_delay_alu instid0(VALU_DEP_4) | instskip(NEXT) | instid1(VALU_DEP_4)
	v_lshlrev_b64_e32 v[40:41], 3, v[40:41]
	v_fmac_f32_e32 v52, v119, v4
	v_mul_f32_e32 v4, v120, v4
	s_delay_alu instid0(VALU_DEP_2) | instskip(NEXT) | instid1(VALU_DEP_2)
	v_cvt_f64_f32_e32 v[52:53], v52
	v_fma_f32 v4, v119, v5, -v4
	s_wait_dscnt 0x2
	v_mul_f32_e32 v48, v130, v1
	v_mul_f32_e32 v13, v130, v0
	;; [unrolled: 1-line block ×3, first 2 shown]
	s_wait_dscnt 0x0
	v_mul_f32_e32 v54, v132, v19
	v_dual_mul_f32 v55, v132, v18 :: v_dual_fmac_f32 v48, v129, v0
	v_mul_f64_e32 v[20:21], s[10:11], v[20:21]
	v_mul_f64_e32 v[26:27], s[10:11], v[26:27]
	;; [unrolled: 1-line block ×3, first 2 shown]
	v_fma_f32 v49, v129, v1, -v13
	v_lshlrev_b64_e32 v[0:1], 3, v[36:37]
	v_mul_f64_e32 v[32:33], s[10:11], v[32:33]
	v_lshlrev_b64_e32 v[12:13], 3, v[38:39]
	v_mul_f64_e32 v[24:25], s[10:11], v[24:25]
	v_mul_f64_e32 v[28:29], s[10:11], v[28:29]
	v_fma_f32 v36, v123, v11, -v43
	v_add_co_u32 v60, s0, s8, v0
	v_mul_f64_e32 v[30:31], s[10:11], v[30:31]
	s_wait_alu 0xf1ff
	v_add_co_ci_u32_e64 v61, s0, s9, v1, s0
	s_delay_alu instid0(VALU_DEP_3) | instskip(SKIP_2) | instid1(VALU_DEP_3)
	v_add_co_u32 v12, s0, v60, v12
	v_cvt_f64_f32_e32 v[10:11], v48
	s_wait_alu 0xf1ff
	v_add_co_ci_u32_e64 v13, s0, v61, v13, s0
	s_wait_alu 0xfffe
	v_add_co_u32 v38, s0, v12, s2
	v_cvt_f64_f32_e32 v[36:37], v36
	s_wait_alu 0xf1ff
	v_add_co_ci_u32_e64 v39, s0, s3, v13, s0
	v_add_co_u32 v40, s0, v60, v40
	s_wait_alu 0xf1ff
	v_add_co_ci_u32_e64 v41, s0, v61, v41, s0
	s_delay_alu instid0(VALU_DEP_3)
	v_mad_co_u64_u32 v[58:59], null, 0xfffff8b0, s4, v[38:39]
	s_sub_co_i32 s0, s1, s4
	v_dual_mul_f32 v51, v118, v8 :: v_dual_mul_f32 v48, v116, v17
	v_fmac_f32_e32 v54, v131, v18
	v_fma_f32 v55, v131, v19, -v55
	v_cvt_f64_f32_e32 v[4:5], v4
	s_wait_alu 0xfffe
	v_add_nc_u32_e32 v59, s0, v59
	v_cvt_f32_f64_e32 v20, v[20:21]
	v_cvt_f32_f64_e32 v21, v[22:23]
	v_cvt_f32_f64_e32 v23, v[26:27]
	v_cvt_f32_f64_e32 v27, v[34:35]
	v_mul_f32_e32 v34, v128, v3
	v_cvt_f32_f64_e32 v26, v[32:33]
	v_mul_f32_e32 v32, v136, v7
	v_mul_f32_e32 v33, v136, v6
	v_fmac_f32_e32 v50, v121, v14
	v_mul_f32_e32 v14, v122, v14
	v_fmac_f32_e32 v34, v127, v2
	v_fmac_f32_e32 v32, v135, v6
	v_fma_f32 v33, v135, v7, -v33
	v_cvt_f32_f64_e32 v22, v[24:25]
	v_fma_f32 v14, v121, v15, -v14
	v_mul_f32_e32 v15, v128, v2
	v_cvt_f32_f64_e32 v24, v[28:29]
	v_cvt_f32_f64_e32 v25, v[30:31]
	v_cvt_f64_f32_e32 v[28:29], v49
	v_cvt_f64_f32_e32 v[30:31], v50
	v_mul_f32_e32 v50, v118, v9
	v_cvt_f64_f32_e32 v[6:7], v14
	v_mul_f32_e32 v49, v116, v16
	v_cvt_f64_f32_e32 v[0:1], v42
	v_mul_f64_e32 v[42:43], s[10:11], v[44:45]
	v_mul_f64_e32 v[44:45], s[10:11], v[46:47]
	v_fma_f32 v46, v127, v3, -v15
	v_cvt_f64_f32_e32 v[2:3], v32
	v_cvt_f64_f32_e32 v[14:15], v33
	;; [unrolled: 1-line block ×3, first 2 shown]
	ds_load_b64 v[34:35], v153 offset:6336
	v_fmac_f32_e32 v48, v115, v16
	v_fma_f32 v16, v115, v17, -v49
	v_fmac_f32_e32 v50, v117, v8
	v_fma_f32 v51, v117, v9, -v51
	v_cvt_f64_f32_e32 v[46:47], v46
	v_cvt_f64_f32_e32 v[8:9], v48
	;; [unrolled: 1-line block ×6, first 2 shown]
	v_mul_f64_e32 v[36:37], s[10:11], v[36:37]
	v_mul_f64_e32 v[10:11], s[10:11], v[10:11]
	s_clause 0x3
	global_store_b64 v[12:13], v[20:21], off
	global_store_b64 v[38:39], v[24:25], off
	;; [unrolled: 1-line block ×4, first 2 shown]
	s_wait_dscnt 0x0
	v_mul_f32_e32 v56, v134, v35
	v_mul_f32_e32 v57, v134, v34
	v_mul_f64_e32 v[28:29], s[10:11], v[28:29]
	v_mul_f64_e32 v[12:13], s[10:11], v[30:31]
	;; [unrolled: 1-line block ×3, first 2 shown]
	v_fmac_f32_e32 v56, v133, v34
	v_fma_f32 v57, v133, v35, -v57
	v_cvt_f64_f32_e32 v[34:35], v55
	v_mul_f64_e32 v[0:1], s[10:11], v[0:1]
	v_mul_f64_e32 v[4:5], s[10:11], v[4:5]
	v_cvt_f64_f32_e32 v[54:55], v56
	v_cvt_f64_f32_e32 v[56:57], v57
	v_mul_f64_e32 v[2:3], s[10:11], v[2:3]
	v_mul_f64_e32 v[14:15], s[10:11], v[14:15]
	;; [unrolled: 1-line block ×4, first 2 shown]
	v_cvt_f32_f64_e32 v20, v[42:43]
	v_cvt_f32_f64_e32 v21, v[44:45]
	v_mul_f64_e32 v[24:25], s[10:11], v[46:47]
	v_mul_f64_e32 v[8:9], s[10:11], v[8:9]
	;; [unrolled: 1-line block ×6, first 2 shown]
	v_add_co_u32 v42, s0, v58, s2
	s_wait_alu 0xf1ff
	v_add_co_ci_u32_e64 v43, s0, s3, v59, s0
	v_cvt_f32_f64_e32 v10, v[10:11]
	v_cvt_f32_f64_e32 v11, v[28:29]
	;; [unrolled: 1-line block ×4, first 2 shown]
	v_mul_f64_e32 v[34:35], s[10:11], v[34:35]
	v_cvt_f32_f64_e32 v0, v[0:1]
	v_cvt_f32_f64_e32 v1, v[36:37]
	v_mul_f64_e32 v[38:39], s[10:11], v[54:55]
	v_mul_f64_e32 v[40:41], s[10:11], v[56:57]
	v_add_co_u32 v36, s0, v42, s2
	s_wait_alu 0xf1ff
	v_add_co_ci_u32_e64 v37, s0, s3, v43, s0
	s_movk_i32 s0, 0xfdf6
	s_mov_b32 s1, -1
	v_cvt_f32_f64_e32 v2, v[2:3]
	s_wait_alu 0xfffe
	s_mul_u64 s[0:1], s[4:5], s[0:1]
	v_cvt_f32_f64_e32 v3, v[14:15]
	s_wait_alu 0xfffe
	s_lshl_b64 s[4:5], s[0:1], 3
	v_cvt_f32_f64_e32 v14, v[22:23]
	s_wait_alu 0xfffe
	v_add_co_u32 v28, s0, v36, s4
	s_wait_alu 0xf1ff
	v_add_co_ci_u32_e64 v29, s0, s5, v37, s0
	v_cvt_f32_f64_e32 v15, v[24:25]
	s_delay_alu instid0(VALU_DEP_3) | instskip(SKIP_1) | instid1(VALU_DEP_3)
	v_add_co_u32 v6, s0, v28, s2
	s_wait_alu 0xf1ff
	v_add_co_ci_u32_e64 v7, s0, s3, v29, s0
	v_cvt_f32_f64_e32 v8, v[8:9]
	v_cvt_f32_f64_e32 v9, v[16:17]
	;; [unrolled: 1-line block ×4, first 2 shown]
	v_add_co_u32 v24, s0, v6, s2
	v_cvt_f32_f64_e32 v22, v[32:33]
	v_cvt_f32_f64_e32 v23, v[4:5]
	;; [unrolled: 1-line block ×3, first 2 shown]
	s_wait_alu 0xf1ff
	v_add_co_ci_u32_e64 v25, s0, s3, v7, s0
	global_store_b64 v[42:43], v[20:21], off
	v_add_co_u32 v20, s0, v24, s4
	v_cvt_f32_f64_e32 v5, v[34:35]
	s_wait_alu 0xf1ff
	v_add_co_ci_u32_e64 v21, s0, s5, v25, s0
	v_cvt_f32_f64_e32 v18, v[38:39]
	v_cvt_f32_f64_e32 v19, v[40:41]
	v_add_co_u32 v26, s0, v20, s2
	s_wait_alu 0xf1ff
	v_add_co_ci_u32_e64 v27, s0, s3, v21, s0
	global_store_b64 v[36:37], v[0:1], off
	global_store_b64 v[28:29], v[10:11], off
	v_add_co_u32 v10, s0, v26, s2
	s_wait_alu 0xf1ff
	v_add_co_ci_u32_e64 v11, s0, s3, v27, s0
	global_store_b64 v[6:7], v[12:13], off
	v_add_co_u32 v6, s0, v10, s4
	s_wait_alu 0xf1ff
	v_add_co_ci_u32_e64 v7, s0, s5, v11, s0
	;; [unrolled: 4-line block ×4, first 2 shown]
	global_store_b64 v[26:27], v[8:9], off
	global_store_b64 v[10:11], v[16:17], off
	;; [unrolled: 1-line block ×5, first 2 shown]
	s_and_b32 exec_lo, exec_lo, vcc_lo
	s_cbranch_execz .LBB0_31
; %bb.30:
	global_load_b64 v[2:3], v[112:113], off offset:2160
	ds_load_b64 v[4:5], v153 offset:2160
	ds_load_b64 v[6:7], v153 offset:4464
	;; [unrolled: 1-line block ×3, first 2 shown]
	v_add_co_u32 v0, vcc_lo, v0, s4
	s_wait_alu 0xfffd
	v_add_co_ci_u32_e32 v1, vcc_lo, s5, v1, vcc_lo
	s_wait_loadcnt_dscnt 0x2
	v_mul_f32_e32 v10, v5, v3
	v_mul_f32_e32 v3, v4, v3
	s_delay_alu instid0(VALU_DEP_2) | instskip(NEXT) | instid1(VALU_DEP_2)
	v_fmac_f32_e32 v10, v4, v2
	v_fma_f32 v4, v2, v5, -v3
	s_delay_alu instid0(VALU_DEP_2) | instskip(NEXT) | instid1(VALU_DEP_2)
	v_cvt_f64_f32_e32 v[2:3], v10
	v_cvt_f64_f32_e32 v[4:5], v4
	s_delay_alu instid0(VALU_DEP_2) | instskip(NEXT) | instid1(VALU_DEP_2)
	v_mul_f64_e32 v[2:3], s[10:11], v[2:3]
	v_mul_f64_e32 v[4:5], s[10:11], v[4:5]
	s_delay_alu instid0(VALU_DEP_2) | instskip(NEXT) | instid1(VALU_DEP_2)
	v_cvt_f32_f64_e32 v2, v[2:3]
	v_cvt_f32_f64_e32 v3, v[4:5]
	global_store_b64 v[0:1], v[2:3], off
	global_load_b64 v[2:3], v[112:113], off offset:4464
	v_add_co_u32 v0, vcc_lo, v0, s2
	s_wait_alu 0xfffd
	v_add_co_ci_u32_e32 v1, vcc_lo, s3, v1, vcc_lo
	s_wait_loadcnt_dscnt 0x1
	v_mul_f32_e32 v4, v7, v3
	v_mul_f32_e32 v3, v6, v3
	s_delay_alu instid0(VALU_DEP_2) | instskip(NEXT) | instid1(VALU_DEP_2)
	v_fmac_f32_e32 v4, v6, v2
	v_fma_f32 v5, v2, v7, -v3
	s_delay_alu instid0(VALU_DEP_2) | instskip(NEXT) | instid1(VALU_DEP_2)
	v_cvt_f64_f32_e32 v[2:3], v4
	v_cvt_f64_f32_e32 v[4:5], v5
	s_delay_alu instid0(VALU_DEP_2) | instskip(NEXT) | instid1(VALU_DEP_2)
	v_mul_f64_e32 v[2:3], s[10:11], v[2:3]
	v_mul_f64_e32 v[4:5], s[10:11], v[4:5]
	s_delay_alu instid0(VALU_DEP_2) | instskip(NEXT) | instid1(VALU_DEP_2)
	v_cvt_f32_f64_e32 v2, v[2:3]
	v_cvt_f32_f64_e32 v3, v[4:5]
	global_store_b64 v[0:1], v[2:3], off
	global_load_b64 v[2:3], v[112:113], off offset:6768
	v_add_co_u32 v0, vcc_lo, v0, s2
	s_wait_alu 0xfffd
	v_add_co_ci_u32_e32 v1, vcc_lo, s3, v1, vcc_lo
	s_wait_loadcnt_dscnt 0x0
	v_mul_f32_e32 v4, v9, v3
	v_mul_f32_e32 v3, v8, v3
	s_delay_alu instid0(VALU_DEP_2) | instskip(NEXT) | instid1(VALU_DEP_2)
	v_fmac_f32_e32 v4, v8, v2
	v_fma_f32 v5, v2, v9, -v3
	s_delay_alu instid0(VALU_DEP_2) | instskip(NEXT) | instid1(VALU_DEP_2)
	v_cvt_f64_f32_e32 v[2:3], v4
	v_cvt_f64_f32_e32 v[4:5], v5
	s_delay_alu instid0(VALU_DEP_2) | instskip(NEXT) | instid1(VALU_DEP_2)
	v_mul_f64_e32 v[2:3], s[10:11], v[2:3]
	v_mul_f64_e32 v[4:5], s[10:11], v[4:5]
	s_delay_alu instid0(VALU_DEP_2) | instskip(NEXT) | instid1(VALU_DEP_2)
	v_cvt_f32_f64_e32 v2, v[2:3]
	v_cvt_f32_f64_e32 v3, v[4:5]
	global_store_b64 v[0:1], v[2:3], off
.LBB0_31:
	s_nop 0
	s_sendmsg sendmsg(MSG_DEALLOC_VGPRS)
	s_endpgm
	.section	.rodata,"a",@progbits
	.p2align	6, 0x0
	.amdhsa_kernel bluestein_single_back_len864_dim1_sp_op_CI_CI
		.amdhsa_group_segment_fixed_size 6912
		.amdhsa_private_segment_fixed_size 0
		.amdhsa_kernarg_size 104
		.amdhsa_user_sgpr_count 2
		.amdhsa_user_sgpr_dispatch_ptr 0
		.amdhsa_user_sgpr_queue_ptr 0
		.amdhsa_user_sgpr_kernarg_segment_ptr 1
		.amdhsa_user_sgpr_dispatch_id 0
		.amdhsa_user_sgpr_private_segment_size 0
		.amdhsa_wavefront_size32 1
		.amdhsa_uses_dynamic_stack 0
		.amdhsa_enable_private_segment 0
		.amdhsa_system_sgpr_workgroup_id_x 1
		.amdhsa_system_sgpr_workgroup_id_y 0
		.amdhsa_system_sgpr_workgroup_id_z 0
		.amdhsa_system_sgpr_workgroup_info 0
		.amdhsa_system_vgpr_workitem_id 0
		.amdhsa_next_free_vgpr 208
		.amdhsa_next_free_sgpr 18
		.amdhsa_reserve_vcc 1
		.amdhsa_float_round_mode_32 0
		.amdhsa_float_round_mode_16_64 0
		.amdhsa_float_denorm_mode_32 3
		.amdhsa_float_denorm_mode_16_64 3
		.amdhsa_fp16_overflow 0
		.amdhsa_workgroup_processor_mode 1
		.amdhsa_memory_ordered 1
		.amdhsa_forward_progress 0
		.amdhsa_round_robin_scheduling 0
		.amdhsa_exception_fp_ieee_invalid_op 0
		.amdhsa_exception_fp_denorm_src 0
		.amdhsa_exception_fp_ieee_div_zero 0
		.amdhsa_exception_fp_ieee_overflow 0
		.amdhsa_exception_fp_ieee_underflow 0
		.amdhsa_exception_fp_ieee_inexact 0
		.amdhsa_exception_int_div_zero 0
	.end_amdhsa_kernel
	.text
.Lfunc_end0:
	.size	bluestein_single_back_len864_dim1_sp_op_CI_CI, .Lfunc_end0-bluestein_single_back_len864_dim1_sp_op_CI_CI
                                        ; -- End function
	.section	.AMDGPU.csdata,"",@progbits
; Kernel info:
; codeLenInByte = 14972
; NumSgprs: 20
; NumVgprs: 208
; ScratchSize: 0
; MemoryBound: 0
; FloatMode: 240
; IeeeMode: 1
; LDSByteSize: 6912 bytes/workgroup (compile time only)
; SGPRBlocks: 2
; VGPRBlocks: 25
; NumSGPRsForWavesPerEU: 20
; NumVGPRsForWavesPerEU: 208
; Occupancy: 7
; WaveLimiterHint : 1
; COMPUTE_PGM_RSRC2:SCRATCH_EN: 0
; COMPUTE_PGM_RSRC2:USER_SGPR: 2
; COMPUTE_PGM_RSRC2:TRAP_HANDLER: 0
; COMPUTE_PGM_RSRC2:TGID_X_EN: 1
; COMPUTE_PGM_RSRC2:TGID_Y_EN: 0
; COMPUTE_PGM_RSRC2:TGID_Z_EN: 0
; COMPUTE_PGM_RSRC2:TIDIG_COMP_CNT: 0
	.text
	.p2alignl 7, 3214868480
	.fill 96, 4, 3214868480
	.type	__hip_cuid_f7075de64fdf7daa,@object ; @__hip_cuid_f7075de64fdf7daa
	.section	.bss,"aw",@nobits
	.globl	__hip_cuid_f7075de64fdf7daa
__hip_cuid_f7075de64fdf7daa:
	.byte	0                               ; 0x0
	.size	__hip_cuid_f7075de64fdf7daa, 1

	.ident	"AMD clang version 19.0.0git (https://github.com/RadeonOpenCompute/llvm-project roc-6.4.0 25133 c7fe45cf4b819c5991fe208aaa96edf142730f1d)"
	.section	".note.GNU-stack","",@progbits
	.addrsig
	.addrsig_sym __hip_cuid_f7075de64fdf7daa
	.amdgpu_metadata
---
amdhsa.kernels:
  - .args:
      - .actual_access:  read_only
        .address_space:  global
        .offset:         0
        .size:           8
        .value_kind:     global_buffer
      - .actual_access:  read_only
        .address_space:  global
        .offset:         8
        .size:           8
        .value_kind:     global_buffer
      - .actual_access:  read_only
        .address_space:  global
        .offset:         16
        .size:           8
        .value_kind:     global_buffer
      - .actual_access:  read_only
        .address_space:  global
        .offset:         24
        .size:           8
        .value_kind:     global_buffer
      - .actual_access:  read_only
        .address_space:  global
        .offset:         32
        .size:           8
        .value_kind:     global_buffer
      - .offset:         40
        .size:           8
        .value_kind:     by_value
      - .address_space:  global
        .offset:         48
        .size:           8
        .value_kind:     global_buffer
      - .address_space:  global
        .offset:         56
        .size:           8
        .value_kind:     global_buffer
      - .address_space:  global
        .offset:         64
        .size:           8
        .value_kind:     global_buffer
      - .address_space:  global
        .offset:         72
        .size:           8
        .value_kind:     global_buffer
      - .offset:         80
        .size:           4
        .value_kind:     by_value
      - .address_space:  global
        .offset:         88
        .size:           8
        .value_kind:     global_buffer
      - .address_space:  global
        .offset:         96
        .size:           8
        .value_kind:     global_buffer
    .group_segment_fixed_size: 6912
    .kernarg_segment_align: 8
    .kernarg_segment_size: 104
    .language:       OpenCL C
    .language_version:
      - 2
      - 0
    .max_flat_workgroup_size: 54
    .name:           bluestein_single_back_len864_dim1_sp_op_CI_CI
    .private_segment_fixed_size: 0
    .sgpr_count:     20
    .sgpr_spill_count: 0
    .symbol:         bluestein_single_back_len864_dim1_sp_op_CI_CI.kd
    .uniform_work_group_size: 1
    .uses_dynamic_stack: false
    .vgpr_count:     208
    .vgpr_spill_count: 0
    .wavefront_size: 32
    .workgroup_processor_mode: 1
amdhsa.target:   amdgcn-amd-amdhsa--gfx1201
amdhsa.version:
  - 1
  - 2
...

	.end_amdgpu_metadata
